;; amdgpu-corpus repo=ROCm/rocFFT kind=compiled arch=gfx1030 opt=O3
	.text
	.amdgcn_target "amdgcn-amd-amdhsa--gfx1030"
	.amdhsa_code_object_version 6
	.protected	fft_rtc_back_len1248_factors_2_2_13_2_3_2_2_wgs_52_tpt_52_halfLds_half_op_CI_CI_sbrr_dirReg ; -- Begin function fft_rtc_back_len1248_factors_2_2_13_2_3_2_2_wgs_52_tpt_52_halfLds_half_op_CI_CI_sbrr_dirReg
	.globl	fft_rtc_back_len1248_factors_2_2_13_2_3_2_2_wgs_52_tpt_52_halfLds_half_op_CI_CI_sbrr_dirReg
	.p2align	8
	.type	fft_rtc_back_len1248_factors_2_2_13_2_3_2_2_wgs_52_tpt_52_halfLds_half_op_CI_CI_sbrr_dirReg,@function
fft_rtc_back_len1248_factors_2_2_13_2_3_2_2_wgs_52_tpt_52_halfLds_half_op_CI_CI_sbrr_dirReg: ; @fft_rtc_back_len1248_factors_2_2_13_2_3_2_2_wgs_52_tpt_52_halfLds_half_op_CI_CI_sbrr_dirReg
; %bb.0:
	s_clause 0x2
	s_load_dwordx4 s[16:19], s[4:5], 0x18
	s_load_dwordx4 s[12:15], s[4:5], 0x0
	;; [unrolled: 1-line block ×3, first 2 shown]
	v_mul_u32_u24_e32 v1, 0x4ed, v0
	v_mov_b32_e32 v3, 0
	s_waitcnt lgkmcnt(0)
	s_load_dwordx2 s[20:21], s[16:17], 0x0
	s_load_dwordx2 s[2:3], s[18:19], 0x0
	v_cmp_lt_u64_e64 s0, s[14:15], 2
	v_add_nc_u32_sdwa v5, s6, v1 dst_sel:DWORD dst_unused:UNUSED_PAD src0_sel:DWORD src1_sel:WORD_1
	v_mov_b32_e32 v1, 0
	v_mov_b32_e32 v6, v3
	;; [unrolled: 1-line block ×3, first 2 shown]
	s_and_b32 vcc_lo, exec_lo, s0
	s_cbranch_vccnz .LBB0_8
; %bb.1:
	s_load_dwordx2 s[0:1], s[4:5], 0x10
	v_mov_b32_e32 v1, 0
	v_mov_b32_e32 v2, 0
	s_add_u32 s6, s18, 8
	s_addc_u32 s7, s19, 0
	s_add_u32 s22, s16, 8
	s_addc_u32 s23, s17, 0
	v_mov_b32_e32 v15, v2
	v_mov_b32_e32 v14, v1
	s_mov_b64 s[26:27], 1
	s_waitcnt lgkmcnt(0)
	s_add_u32 s24, s0, 8
	s_addc_u32 s25, s1, 0
.LBB0_2:                                ; =>This Inner Loop Header: Depth=1
	s_load_dwordx2 s[28:29], s[24:25], 0x0
                                        ; implicit-def: $vgpr16_vgpr17
	s_mov_b32 s0, exec_lo
	s_waitcnt lgkmcnt(0)
	v_or_b32_e32 v4, s29, v6
	v_cmpx_ne_u64_e32 0, v[3:4]
	s_xor_b32 s1, exec_lo, s0
	s_cbranch_execz .LBB0_4
; %bb.3:                                ;   in Loop: Header=BB0_2 Depth=1
	v_cvt_f32_u32_e32 v4, s28
	v_cvt_f32_u32_e32 v7, s29
	s_sub_u32 s0, 0, s28
	s_subb_u32 s30, 0, s29
	v_fmac_f32_e32 v4, 0x4f800000, v7
	v_rcp_f32_e32 v4, v4
	v_mul_f32_e32 v4, 0x5f7ffffc, v4
	v_mul_f32_e32 v7, 0x2f800000, v4
	v_trunc_f32_e32 v7, v7
	v_fmac_f32_e32 v4, 0xcf800000, v7
	v_cvt_u32_f32_e32 v7, v7
	v_cvt_u32_f32_e32 v4, v4
	v_mul_lo_u32 v8, s0, v7
	v_mul_hi_u32 v9, s0, v4
	v_mul_lo_u32 v10, s30, v4
	v_add_nc_u32_e32 v8, v9, v8
	v_mul_lo_u32 v9, s0, v4
	v_add_nc_u32_e32 v8, v8, v10
	v_mul_hi_u32 v10, v4, v9
	v_mul_lo_u32 v11, v4, v8
	v_mul_hi_u32 v12, v4, v8
	v_mul_hi_u32 v13, v7, v9
	v_mul_lo_u32 v9, v7, v9
	v_mul_hi_u32 v16, v7, v8
	v_mul_lo_u32 v8, v7, v8
	v_add_co_u32 v10, vcc_lo, v10, v11
	v_add_co_ci_u32_e32 v11, vcc_lo, 0, v12, vcc_lo
	v_add_co_u32 v9, vcc_lo, v10, v9
	v_add_co_ci_u32_e32 v9, vcc_lo, v11, v13, vcc_lo
	v_add_co_ci_u32_e32 v10, vcc_lo, 0, v16, vcc_lo
	v_add_co_u32 v8, vcc_lo, v9, v8
	v_add_co_ci_u32_e32 v9, vcc_lo, 0, v10, vcc_lo
	v_add_co_u32 v4, vcc_lo, v4, v8
	v_add_co_ci_u32_e32 v7, vcc_lo, v7, v9, vcc_lo
	v_mul_hi_u32 v8, s0, v4
	v_mul_lo_u32 v10, s30, v4
	v_mul_lo_u32 v9, s0, v7
	v_add_nc_u32_e32 v8, v8, v9
	v_mul_lo_u32 v9, s0, v4
	v_add_nc_u32_e32 v8, v8, v10
	v_mul_hi_u32 v10, v4, v9
	v_mul_lo_u32 v11, v4, v8
	v_mul_hi_u32 v12, v4, v8
	v_mul_hi_u32 v13, v7, v9
	v_mul_lo_u32 v9, v7, v9
	v_mul_hi_u32 v16, v7, v8
	v_mul_lo_u32 v8, v7, v8
	v_add_co_u32 v10, vcc_lo, v10, v11
	v_add_co_ci_u32_e32 v11, vcc_lo, 0, v12, vcc_lo
	v_add_co_u32 v9, vcc_lo, v10, v9
	v_add_co_ci_u32_e32 v9, vcc_lo, v11, v13, vcc_lo
	v_add_co_ci_u32_e32 v10, vcc_lo, 0, v16, vcc_lo
	v_add_co_u32 v8, vcc_lo, v9, v8
	v_add_co_ci_u32_e32 v9, vcc_lo, 0, v10, vcc_lo
	v_add_co_u32 v4, vcc_lo, v4, v8
	v_add_co_ci_u32_e32 v11, vcc_lo, v7, v9, vcc_lo
	v_mul_hi_u32 v13, v5, v4
	v_mad_u64_u32 v[9:10], null, v6, v4, 0
	v_mad_u64_u32 v[7:8], null, v5, v11, 0
	v_mad_u64_u32 v[11:12], null, v6, v11, 0
	v_add_co_u32 v4, vcc_lo, v13, v7
	v_add_co_ci_u32_e32 v7, vcc_lo, 0, v8, vcc_lo
	v_add_co_u32 v4, vcc_lo, v4, v9
	v_add_co_ci_u32_e32 v4, vcc_lo, v7, v10, vcc_lo
	v_add_co_ci_u32_e32 v7, vcc_lo, 0, v12, vcc_lo
	v_add_co_u32 v4, vcc_lo, v4, v11
	v_add_co_ci_u32_e32 v9, vcc_lo, 0, v7, vcc_lo
	v_mul_lo_u32 v10, s29, v4
	v_mad_u64_u32 v[7:8], null, s28, v4, 0
	v_mul_lo_u32 v11, s28, v9
	v_sub_co_u32 v7, vcc_lo, v5, v7
	v_add3_u32 v8, v8, v11, v10
	v_sub_nc_u32_e32 v10, v6, v8
	v_subrev_co_ci_u32_e64 v10, s0, s29, v10, vcc_lo
	v_add_co_u32 v11, s0, v4, 2
	v_add_co_ci_u32_e64 v12, s0, 0, v9, s0
	v_sub_co_u32 v13, s0, v7, s28
	v_sub_co_ci_u32_e32 v8, vcc_lo, v6, v8, vcc_lo
	v_subrev_co_ci_u32_e64 v10, s0, 0, v10, s0
	v_cmp_le_u32_e32 vcc_lo, s28, v13
	v_cmp_eq_u32_e64 s0, s29, v8
	v_cndmask_b32_e64 v13, 0, -1, vcc_lo
	v_cmp_le_u32_e32 vcc_lo, s29, v10
	v_cndmask_b32_e64 v16, 0, -1, vcc_lo
	v_cmp_le_u32_e32 vcc_lo, s28, v7
	;; [unrolled: 2-line block ×3, first 2 shown]
	v_cndmask_b32_e64 v17, 0, -1, vcc_lo
	v_cmp_eq_u32_e32 vcc_lo, s29, v10
	v_cndmask_b32_e64 v7, v17, v7, s0
	v_cndmask_b32_e32 v10, v16, v13, vcc_lo
	v_add_co_u32 v13, vcc_lo, v4, 1
	v_add_co_ci_u32_e32 v16, vcc_lo, 0, v9, vcc_lo
	v_cmp_ne_u32_e32 vcc_lo, 0, v10
	v_cndmask_b32_e32 v8, v16, v12, vcc_lo
	v_cndmask_b32_e32 v10, v13, v11, vcc_lo
	v_cmp_ne_u32_e32 vcc_lo, 0, v7
	v_cndmask_b32_e32 v17, v9, v8, vcc_lo
	v_cndmask_b32_e32 v16, v4, v10, vcc_lo
.LBB0_4:                                ;   in Loop: Header=BB0_2 Depth=1
	s_andn2_saveexec_b32 s0, s1
	s_cbranch_execz .LBB0_6
; %bb.5:                                ;   in Loop: Header=BB0_2 Depth=1
	v_cvt_f32_u32_e32 v4, s28
	s_sub_i32 s1, 0, s28
	v_mov_b32_e32 v17, v3
	v_rcp_iflag_f32_e32 v4, v4
	v_mul_f32_e32 v4, 0x4f7ffffe, v4
	v_cvt_u32_f32_e32 v4, v4
	v_mul_lo_u32 v7, s1, v4
	v_mul_hi_u32 v7, v4, v7
	v_add_nc_u32_e32 v4, v4, v7
	v_mul_hi_u32 v4, v5, v4
	v_mul_lo_u32 v7, v4, s28
	v_add_nc_u32_e32 v8, 1, v4
	v_sub_nc_u32_e32 v7, v5, v7
	v_subrev_nc_u32_e32 v9, s28, v7
	v_cmp_le_u32_e32 vcc_lo, s28, v7
	v_cndmask_b32_e32 v7, v7, v9, vcc_lo
	v_cndmask_b32_e32 v4, v4, v8, vcc_lo
	v_cmp_le_u32_e32 vcc_lo, s28, v7
	v_add_nc_u32_e32 v8, 1, v4
	v_cndmask_b32_e32 v16, v4, v8, vcc_lo
.LBB0_6:                                ;   in Loop: Header=BB0_2 Depth=1
	s_or_b32 exec_lo, exec_lo, s0
	v_mul_lo_u32 v4, v17, s28
	v_mul_lo_u32 v9, v16, s29
	s_load_dwordx2 s[0:1], s[22:23], 0x0
	v_mad_u64_u32 v[7:8], null, v16, s28, 0
	s_load_dwordx2 s[28:29], s[6:7], 0x0
	s_add_u32 s26, s26, 1
	s_addc_u32 s27, s27, 0
	s_add_u32 s6, s6, 8
	s_addc_u32 s7, s7, 0
	s_add_u32 s22, s22, 8
	v_add3_u32 v4, v8, v9, v4
	v_sub_co_u32 v5, vcc_lo, v5, v7
	s_addc_u32 s23, s23, 0
	s_add_u32 s24, s24, 8
	v_sub_co_ci_u32_e32 v4, vcc_lo, v6, v4, vcc_lo
	s_addc_u32 s25, s25, 0
	s_waitcnt lgkmcnt(0)
	v_mul_lo_u32 v6, s0, v4
	v_mul_lo_u32 v7, s1, v5
	v_mad_u64_u32 v[1:2], null, s0, v5, v[1:2]
	v_mul_lo_u32 v4, s28, v4
	v_mul_lo_u32 v8, s29, v5
	v_mad_u64_u32 v[14:15], null, s28, v5, v[14:15]
	v_cmp_ge_u64_e64 s0, s[26:27], s[14:15]
	v_add3_u32 v2, v7, v2, v6
	v_add3_u32 v15, v8, v15, v4
	s_and_b32 vcc_lo, exec_lo, s0
	s_cbranch_vccnz .LBB0_9
; %bb.7:                                ;   in Loop: Header=BB0_2 Depth=1
	v_mov_b32_e32 v5, v16
	v_mov_b32_e32 v6, v17
	s_branch .LBB0_2
.LBB0_8:
	v_mov_b32_e32 v15, v2
	v_mov_b32_e32 v17, v6
	;; [unrolled: 1-line block ×4, first 2 shown]
.LBB0_9:
	s_load_dwordx2 s[0:1], s[4:5], 0x28
	v_mul_hi_u32 v35, 0x4ec4ec5, v0
	s_lshl_b64 s[6:7], s[14:15], 3
                                        ; implicit-def: $sgpr14
                                        ; implicit-def: $vgpr12
                                        ; implicit-def: $vgpr26
                                        ; implicit-def: $vgpr28
                                        ; implicit-def: $vgpr30
                                        ; implicit-def: $vgpr32
                                        ; implicit-def: $vgpr34
                                        ; implicit-def: $vgpr18
                                        ; implicit-def: $vgpr19
                                        ; implicit-def: $vgpr20
                                        ; implicit-def: $vgpr21
                                        ; implicit-def: $vgpr23
                                        ; implicit-def: $vgpr25
	s_add_u32 s4, s18, s6
	s_addc_u32 s5, s19, s7
	s_waitcnt lgkmcnt(0)
	v_cmp_gt_u64_e32 vcc_lo, s[0:1], v[16:17]
	v_cmp_le_u64_e64 s0, s[0:1], v[16:17]
	s_and_saveexec_b32 s1, s0
	s_xor_b32 s0, exec_lo, s1
	s_cbranch_execz .LBB0_11
; %bb.10:
	v_mul_u32_u24_e32 v1, 52, v35
	s_mov_b32 s14, 0
                                        ; implicit-def: $vgpr35
	v_sub_nc_u32_e32 v12, v0, v1
                                        ; implicit-def: $vgpr0
                                        ; implicit-def: $vgpr1_vgpr2
	v_add_nc_u32_e32 v26, 52, v12
	v_add_nc_u32_e32 v28, 0x68, v12
	;; [unrolled: 1-line block ×11, first 2 shown]
.LBB0_11:
	s_or_saveexec_b32 s1, s0
	v_mov_b32_e32 v3, s14
	v_mov_b32_e32 v7, s14
	;; [unrolled: 1-line block ×12, first 2 shown]
                                        ; implicit-def: $vgpr33
                                        ; implicit-def: $vgpr27
                                        ; implicit-def: $vgpr8
                                        ; implicit-def: $vgpr22
                                        ; implicit-def: $vgpr66
                                        ; implicit-def: $vgpr13
                                        ; implicit-def: $vgpr67
                                        ; implicit-def: $vgpr10
                                        ; implicit-def: $vgpr68
                                        ; implicit-def: $vgpr31
                                        ; implicit-def: $vgpr69
                                        ; implicit-def: $vgpr29
                                        ; implicit-def: $vgpr70
                                        ; implicit-def: $vgpr24
                                        ; implicit-def: $vgpr61
                                        ; implicit-def: $vgpr5
                                        ; implicit-def: $vgpr62
                                        ; implicit-def: $vgpr4
                                        ; implicit-def: $vgpr63
                                        ; implicit-def: $vgpr11
                                        ; implicit-def: $vgpr64
                                        ; implicit-def: $vgpr6
                                        ; implicit-def: $vgpr65
                                        ; implicit-def: $vgpr9
	s_xor_b32 exec_lo, exec_lo, s1
	s_cbranch_execz .LBB0_13
; %bb.12:
	s_add_u32 s6, s16, s6
	s_addc_u32 s7, s17, s7
	v_mul_u32_u24_e32 v3, 52, v35
	s_load_dwordx2 s[6:7], s[6:7], 0x0
	v_sub_nc_u32_e32 v12, v0, v3
	v_lshlrev_b64 v[0:1], 2, v[1:2]
	v_mad_u64_u32 v[3:4], null, s20, v12, 0
	v_add_nc_u32_e32 v11, 0x270, v12
	v_add_nc_u32_e32 v26, 52, v12
	;; [unrolled: 1-line block ×5, first 2 shown]
	v_mad_u64_u32 v[5:6], null, s20, v11, 0
	v_mov_b32_e32 v2, v4
	v_mad_u64_u32 v[7:8], null, s20, v26, 0
	s_waitcnt lgkmcnt(0)
	v_mul_lo_u32 v4, s7, v16
	v_mul_lo_u32 v21, s6, v17
	v_mad_u64_u32 v[9:10], null, s6, v16, 0
	v_mad_u64_u32 v[18:19], null, s21, v12, v[2:3]
	v_mov_b32_e32 v2, v6
	v_mov_b32_e32 v6, v8
	v_mad_u64_u32 v[19:20], null, s20, v13, 0
	v_add3_u32 v10, v10, v21, v4
	v_mad_u64_u32 v[21:22], null, s21, v11, v[2:3]
	v_mov_b32_e32 v4, v18
	v_mad_u64_u32 v[22:23], null, s20, v28, 0
	v_lshlrev_b64 v[8:9], 2, v[9:10]
	v_mad_u64_u32 v[10:11], null, s21, v26, v[6:7]
	v_lshlrev_b64 v[3:4], 2, v[3:4]
	v_mov_b32_e32 v2, v20
	v_mov_b32_e32 v6, v21
	v_add_co_u32 v11, s0, s8, v8
	v_add_co_ci_u32_e64 v9, s0, s9, v9, s0
	v_mov_b32_e32 v8, v10
	v_add_co_u32 v33, s0, v11, v0
	v_add_co_ci_u32_e64 v81, s0, v9, v1, s0
	v_lshlrev_b64 v[0:1], 2, v[5:6]
	v_add_co_u32 v3, s0, v33, v3
	v_add_co_ci_u32_e64 v4, s0, v81, v4, s0
	v_add_nc_u32_e32 v32, 0xd0, v12
	v_mad_u64_u32 v[5:6], null, s21, v13, v[2:3]
	v_add_nc_u32_e32 v13, 0x2d8, v12
	v_mov_b32_e32 v2, v23
	v_lshlrev_b64 v[6:7], 2, v[7:8]
	v_add_co_u32 v0, s0, v33, v0
	v_mad_u64_u32 v[8:9], null, s20, v13, 0
	v_mad_u64_u32 v[10:11], null, s21, v28, v[2:3]
	v_mov_b32_e32 v20, v5
	v_add_co_ci_u32_e64 v1, s0, v81, v1, s0
	v_add_co_u32 v5, s0, v33, v6
	v_mov_b32_e32 v2, v9
	v_mov_b32_e32 v23, v10
	v_mad_u64_u32 v[10:11], null, s20, v30, 0
	v_lshlrev_b64 v[18:19], 2, v[19:20]
	v_mad_u64_u32 v[20:21], null, s21, v13, v[2:3]
	v_add_co_ci_u32_e64 v6, s0, v81, v7, s0
	v_add_nc_u32_e32 v13, 0x30c, v12
	v_add_co_u32 v35, s0, v33, v18
	v_mov_b32_e32 v2, v11
	v_add_co_ci_u32_e64 v36, s0, v81, v19, s0
	v_lshlrev_b64 v[18:19], 2, v[22:23]
	v_mov_b32_e32 v9, v20
	v_mad_u64_u32 v[20:21], null, s20, v13, 0
	v_mad_u64_u32 v[22:23], null, s21, v30, v[2:3]
	v_add_co_u32 v37, s0, v33, v18
	v_add_co_ci_u32_e64 v38, s0, v81, v19, s0
	v_mad_u64_u32 v[18:19], null, s20, v32, 0
	v_lshlrev_b64 v[7:8], 2, v[8:9]
	v_mov_b32_e32 v2, v21
	v_mov_b32_e32 v11, v22
	v_add_nc_u32_e32 v34, 0x104, v12
	v_add_nc_u32_e32 v27, 0x374, v12
	v_mad_u64_u32 v[21:22], null, s21, v13, v[2:3]
	v_or_b32_e32 v13, 0x340, v12
	v_add_co_u32 v39, s0, v33, v7
	v_mov_b32_e32 v2, v19
	v_add_co_ci_u32_e64 v40, s0, v81, v8, s0
	v_lshlrev_b64 v[7:8], 2, v[10:11]
	v_mad_u64_u32 v[9:10], null, s20, v13, 0
	v_mad_u64_u32 v[22:23], null, s21, v32, v[2:3]
	v_add_co_u32 v41, s0, v33, v7
	v_add_co_ci_u32_e64 v42, s0, v81, v8, s0
	v_lshlrev_b64 v[7:8], 2, v[20:21]
	v_mad_u64_u32 v[20:21], null, s20, v34, 0
	v_mov_b32_e32 v2, v10
	v_mov_b32_e32 v19, v22
	v_mad_u64_u32 v[22:23], null, s20, v27, 0
	v_add_co_u32 v43, s0, v33, v7
	v_mad_u64_u32 v[10:11], null, s21, v13, v[2:3]
	v_mov_b32_e32 v2, v21
	v_add_co_ci_u32_e64 v44, s0, v81, v8, s0
	v_lshlrev_b64 v[7:8], 2, v[18:19]
	v_add_nc_u32_e32 v18, 0x138, v12
	v_mov_b32_e32 v11, v23
	v_mad_u64_u32 v[23:24], null, s21, v34, v[2:3]
	v_add_nc_u32_e32 v13, 0x3a8, v12
	v_mad_u64_u32 v[24:25], null, s20, v18, 0
	v_mad_u64_u32 v[45:46], null, s21, v27, v[11:12]
	v_add_co_u32 v46, s0, v33, v7
	v_add_nc_u32_e32 v19, 0x16c, v12
	v_add_co_ci_u32_e64 v47, s0, v81, v8, s0
	v_mov_b32_e32 v2, v25
	v_lshlrev_b64 v[7:8], 2, v[9:10]
	v_mad_u64_u32 v[48:49], null, s20, v19, 0
	v_mov_b32_e32 v21, v23
	v_mad_u64_u32 v[9:10], null, s21, v18, v[2:3]
	v_mad_u64_u32 v[10:11], null, s20, v13, 0
	v_mov_b32_e32 v23, v45
	v_add_co_u32 v50, s0, v33, v7
	v_add_co_ci_u32_e64 v51, s0, v81, v8, s0
	v_lshlrev_b64 v[7:8], 2, v[20:21]
	v_mov_b32_e32 v2, v11
	v_mov_b32_e32 v11, v49
	v_lshlrev_b64 v[20:21], 2, v[22:23]
	v_mov_b32_e32 v25, v9
	v_add_nc_u32_e32 v27, 0x410, v12
	v_mad_u64_u32 v[22:23], null, s21, v13, v[2:3]
	v_mad_u64_u32 v[52:53], null, s21, v19, v[11:12]
	v_add_nc_u32_e32 v13, 0x3dc, v12
	v_add_co_u32 v53, s0, v33, v7
	v_add_co_ci_u32_e64 v54, s0, v81, v8, s0
	v_lshlrev_b64 v[7:8], 2, v[24:25]
	v_mov_b32_e32 v11, v22
	v_mad_u64_u32 v[22:23], null, s20, v13, 0
	v_add_co_u32 v57, s0, v33, v20
	v_add_nc_u32_e32 v20, 0x1a0, v12
	v_mov_b32_e32 v49, v52
	v_add_co_ci_u32_e64 v58, s0, v81, v21, s0
	v_add_co_u32 v61, s0, v33, v7
	v_mad_u64_u32 v[24:25], null, s20, v20, 0
	v_add_co_ci_u32_e64 v62, s0, v81, v8, s0
	v_lshlrev_b64 v[7:8], 2, v[10:11]
	v_lshlrev_b64 v[9:10], 2, v[48:49]
	v_mov_b32_e32 v2, v23
	v_mad_u64_u32 v[48:49], null, s20, v27, 0
	v_mov_b32_e32 v11, v25
	v_add_nc_u32_e32 v21, 0x1d4, v12
	v_mad_u64_u32 v[55:56], null, s21, v13, v[2:3]
	v_add_co_u32 v63, s0, v33, v7
	v_mov_b32_e32 v2, v49
	v_mad_u64_u32 v[59:60], null, s21, v20, v[11:12]
	v_add_co_ci_u32_e64 v64, s0, v81, v8, s0
	v_mov_b32_e32 v23, v55
	v_mad_u64_u32 v[7:8], null, s21, v27, v[2:3]
	v_mad_u64_u32 v[55:56], null, s20, v21, 0
	v_add_nc_u32_e32 v13, 0x444, v12
	v_mov_b32_e32 v25, v59
	v_add_co_u32 v65, s0, v33, v9
	v_mov_b32_e32 v49, v7
	v_mad_u64_u32 v[59:60], null, s20, v13, 0
	v_mov_b32_e32 v2, v56
	v_lshlrev_b64 v[8:9], 2, v[22:23]
	v_add_nc_u32_e32 v23, 0x208, v12
	v_add_co_ci_u32_e64 v66, s0, v81, v10, s0
	v_lshlrev_b64 v[10:11], 2, v[24:25]
	v_lshlrev_b64 v[24:25], 2, v[48:49]
	v_mad_u64_u32 v[48:49], null, s21, v21, v[2:3]
	v_add_co_u32 v8, s0, v33, v8
	v_mov_b32_e32 v2, v60
	v_mad_u64_u32 v[67:68], null, s20, v23, 0
	v_add_nc_u32_e32 v7, 0x478, v12
	v_add_co_ci_u32_e64 v9, s0, v81, v9, s0
	v_add_co_u32 v69, s0, v33, v10
	v_add_co_ci_u32_e64 v70, s0, v81, v11, s0
	v_mov_b32_e32 v56, v48
	v_mad_u64_u32 v[10:11], null, s21, v13, v[2:3]
	v_mad_u64_u32 v[48:49], null, s20, v7, 0
	v_mov_b32_e32 v2, v68
	v_add_co_u32 v71, s0, v33, v24
	v_add_co_ci_u32_e64 v72, s0, v81, v25, s0
	v_lshlrev_b64 v[24:25], 2, v[55:56]
	v_mov_b32_e32 v60, v10
	v_mad_u64_u32 v[10:11], null, s21, v23, v[2:3]
	v_mov_b32_e32 v2, v49
	v_add_nc_u32_e32 v13, 0x4ac, v12
	v_add_co_u32 v73, s0, v33, v24
	v_add_co_ci_u32_e64 v74, s0, v81, v25, s0
	v_mad_u64_u32 v[24:25], null, s21, v7, v[2:3]
	v_add_nc_u32_e32 v25, 0x23c, v12
	v_lshlrev_b64 v[55:56], 2, v[59:60]
	v_mad_u64_u32 v[59:60], null, s20, v13, 0
	v_mov_b32_e32 v68, v10
	v_mad_u64_u32 v[75:76], null, s20, v25, 0
	v_add_co_u32 v77, s0, v33, v55
	v_lshlrev_b64 v[10:11], 2, v[67:68]
	v_mov_b32_e32 v7, v60
	v_add_co_ci_u32_e64 v78, s0, v81, v56, s0
	v_mov_b32_e32 v2, v76
	v_mov_b32_e32 v49, v24
	v_mad_u64_u32 v[67:68], null, s21, v13, v[7:8]
	v_add_co_u32 v79, s0, v33, v10
	v_mad_u64_u32 v[55:56], null, s21, v25, v[2:3]
	v_lshlrev_b64 v[48:49], 2, v[48:49]
	v_add_co_ci_u32_e64 v80, s0, v81, v11, s0
	v_mov_b32_e32 v60, v67
	v_mov_b32_e32 v76, v55
	s_clause 0x7
	global_load_dword v3, v[3:4], off
	global_load_dword v27, v[0:1], off
	;; [unrolled: 1-line block ×8, first 2 shown]
	v_lshlrev_b64 v[0:1], 2, v[59:60]
	v_add_co_u32 v48, s0, v33, v48
	s_clause 0x7
	global_load_dword v60, v[46:47], off
	global_load_dword v31, v[50:51], off
	;; [unrolled: 1-line block ×8, first 2 shown]
	v_lshlrev_b64 v[8:9], 2, v[75:76]
	v_add_co_ci_u32_e64 v49, s0, v81, v49, s0
	v_add_co_u32 v0, s0, v33, v0
	v_add_co_ci_u32_e64 v1, s0, v81, v1, s0
	v_add_co_u32 v35, s0, v33, v8
	v_add_co_ci_u32_e64 v36, s0, v81, v9, s0
	s_clause 0x7
	global_load_dword v11, v[77:78], off
	global_load_dword v6, v[48:49], off
	;; [unrolled: 1-line block ×8, first 2 shown]
	s_waitcnt vmcnt(22)
	v_lshrrev_b32_e32 v33, 16, v27
	s_waitcnt vmcnt(20)
	v_lshrrev_b32_e32 v8, 16, v22
	;; [unrolled: 2-line block ×4, first 2 shown]
	v_lshrrev_b32_e32 v67, 16, v10
	s_waitcnt vmcnt(12)
	v_lshrrev_b32_e32 v69, 16, v29
	s_waitcnt vmcnt(10)
	;; [unrolled: 2-line block ×7, first 2 shown]
	v_lshrrev_b32_e32 v65, 16, v9
.LBB0_13:
	s_or_b32 exec_lo, exec_lo, s1
	v_sub_f16_e32 v1, v3, v27
	v_lshrrev_b32_e32 v0, 16, v3
	v_sub_f16_e32 v2, v7, v22
	v_sub_f16_e32 v13, v56, v13
	;; [unrolled: 1-line block ×3, first 2 shown]
	v_fma_f16 v3, v3, 2.0, -v1
	v_sub_f16_e32 v40, v0, v33
	v_sub_f16_e32 v22, v60, v31
	v_fma_f16 v27, v7, 2.0, -v2
	v_sub_f16_e32 v31, v59, v29
	v_sub_f16_e32 v36, v58, v24
	v_fma_f16 v24, v56, 2.0, -v13
	v_fma_f16 v33, v55, 2.0, -v10
	v_lshl_add_u32 v72, v12, 2, 0
	v_pack_b32_f16 v1, v3, v1
	v_fma_f16 v38, v60, 2.0, -v22
	v_fma_f16 v39, v59, 2.0, -v31
	;; [unrolled: 1-line block ×3, first 2 shown]
	s_waitcnt vmcnt(1)
	v_sub_f16_e32 v11, v51, v11
	v_lshl_add_u32 v73, v26, 2, 0
	v_pack_b32_f16 v2, v27, v2
	v_lshl_add_u32 v74, v28, 2, 0
	v_pack_b32_f16 v3, v24, v13
	ds_write_b32 v72, v1
	v_lshl_add_u32 v29, v30, 2, 0
	v_pack_b32_f16 v1, v33, v10
	v_fma_f16 v53, v51, 2.0, -v11
	ds_write_b32 v73, v2
	ds_write_b32 v74, v3
	v_lshl_add_u32 v13, v32, 2, 0
	v_pack_b32_f16 v2, v38, v22
	v_lshl_add_u32 v24, v34, 2, 0
	v_pack_b32_f16 v3, v39, v31
	ds_write_b32 v29, v1
	v_lshl_add_u32 v33, v18, 2, 0
	v_pack_b32_f16 v1, v41, v36
	v_sub_f16_e32 v5, v52, v5
	s_waitcnt vmcnt(0)
	v_sub_f16_e32 v4, v57, v4
	v_lshrrev_b32_e32 v56, 16, v56
	ds_write_b32 v13, v2
	ds_write_b32 v24, v3
	;; [unrolled: 1-line block ×3, first 2 shown]
	v_pack_b32_f16 v1, v53, v11
	v_lshrrev_b32_e32 v11, 16, v7
	v_lshrrev_b32_e32 v55, 16, v55
	;; [unrolled: 1-line block ×5, first 2 shown]
	v_sub_f16_e32 v6, v43, v6
	v_sub_f16_e32 v9, v42, v9
	v_fma_f16 v48, v52, 2.0, -v5
	v_fma_f16 v49, v57, 2.0, -v4
	v_sub_f16_e32 v66, v56, v66
	v_sub_f16_e32 v78, v11, v8
	;; [unrolled: 1-line block ×6, first 2 shown]
	v_fma_f16 v0, v0, 2.0, -v40
	v_fma_f16 v54, v43, 2.0, -v6
	;; [unrolled: 1-line block ×3, first 2 shown]
	v_lshlrev_b32_e32 v35, 1, v12
	v_lshlrev_b32_e32 v44, 1, v30
	;; [unrolled: 1-line block ×3, first 2 shown]
	v_lshl_add_u32 v22, v19, 2, 0
	v_pack_b32_f16 v2, v48, v5
	v_lshl_add_u32 v27, v20, 2, 0
	v_pack_b32_f16 v3, v49, v4
	v_fma_f16 v56, v56, 2.0, -v66
	v_lshlrev_b32_e32 v46, 1, v34
	v_fma_f16 v79, v11, 2.0, -v78
	v_fma_f16 v55, v55, 2.0, -v67
	v_lshlrev_b32_e32 v47, 1, v18
	v_fma_f16 v60, v60, 2.0, -v68
	v_lshlrev_b32_e32 v50, 1, v19
	;; [unrolled: 2-line block ×4, first 2 shown]
	v_lshlrev_b32_e32 v75, 1, v28
	ds_write_b32 v22, v2
	ds_write_b32 v27, v3
	v_lshlrev_b32_e32 v49, 1, v21
	v_lshl_add_u32 v36, v21, 2, 0
	v_lshl_add_u32 v38, v23, 2, 0
	v_pack_b32_f16 v2, v54, v6
	v_lshl_add_u32 v31, v25, 2, 0
	v_pack_b32_f16 v3, v71, v9
	v_lshlrev_b32_e32 v53, 1, v23
	v_lshlrev_b32_e32 v54, 1, v25
	v_sub_nc_u32_e32 v71, v29, v44
	v_pack_b32_f16 v76, v0, v40
	v_add_nc_u32_e32 v40, 0, v35
	v_sub_nc_u32_e32 v80, v13, v45
	v_pack_b32_f16 v56, v56, v66
	v_sub_nc_u32_e32 v81, v24, v46
	v_pack_b32_f16 v78, v79, v78
	v_pack_b32_f16 v55, v55, v67
	v_sub_nc_u32_e32 v82, v33, v47
	v_pack_b32_f16 v60, v60, v68
	v_sub_nc_u32_e32 v85, v22, v50
	;; [unrolled: 2-line block ×3, first 2 shown]
	v_pack_b32_f16 v58, v58, v70
	v_lshrrev_b32_e32 v52, 16, v52
	s_load_dwordx2 s[4:5], s[4:5], 0x0
	ds_write_b32 v36, v1
	ds_write_b32 v38, v2
	;; [unrolled: 1-line block ×3, first 2 shown]
	s_waitcnt lgkmcnt(0)
	s_barrier
	buffer_gl0_inv
	v_add_nc_u32_e32 v39, 0, v75
	v_add_nc_u32_e32 v41, 0, v37
	ds_read_u16 v77, v71
	ds_read_u16 v83, v40
	ds_read_u16 v6, v40 offset:1248
	ds_read_u16 v5, v40 offset:1352
	;; [unrolled: 1-line block ×7, first 2 shown]
	v_sub_nc_u32_e32 v87, v36, v49
	v_sub_nc_u32_e32 v88, v38, v53
	ds_read_u16 v10, v40 offset:1976
	ds_read_u16 v9, v40 offset:2080
	;; [unrolled: 1-line block ×4, first 2 shown]
	v_sub_nc_u32_e32 v89, v31, v54
	ds_read_u16 v91, v80
	ds_read_u16 v92, v81
	;; [unrolled: 1-line block ×10, first 2 shown]
	ds_read_u16 v11, v40 offset:2392
	s_waitcnt lgkmcnt(0)
	s_barrier
	buffer_gl0_inv
	ds_write_b32 v72, v76
	ds_write_b32 v73, v78
	;; [unrolled: 1-line block ×7, first 2 shown]
	v_lshrrev_b32_e32 v55, 16, v57
	v_lshrrev_b32_e32 v51, 16, v51
	;; [unrolled: 1-line block ×4, first 2 shown]
	v_sub_f16_e32 v56, v52, v61
	v_sub_f16_e32 v57, v55, v62
	;; [unrolled: 1-line block ×5, first 2 shown]
	v_fma_f16 v52, v52, 2.0, -v56
	v_fma_f16 v55, v55, 2.0, -v57
	;; [unrolled: 1-line block ×5, first 2 shown]
	v_pack_b32_f16 v52, v52, v56
	v_and_b32_e32 v56, 1, v12
	v_pack_b32_f16 v55, v55, v57
	v_pack_b32_f16 v51, v51, v58
	;; [unrolled: 1-line block ×4, first 2 shown]
	ds_write_b32 v22, v52
	ds_write_b32 v27, v55
	;; [unrolled: 1-line block ×4, first 2 shown]
	v_lshlrev_b32_e32 v43, 2, v56
	v_and_or_b32 v51, 0xfc, v37, v56
	v_and_or_b32 v52, 0x1fc, v75, v56
	ds_write_b32 v31, v42
	s_waitcnt lgkmcnt(0)
	s_barrier
	buffer_gl0_inv
	global_load_dword v43, v43, s[12:13]
	v_and_or_b32 v55, 0x1fc, v44, v56
	v_and_or_b32 v69, 0x4fc, v53, v56
	;; [unrolled: 1-line block ×3, first 2 shown]
	v_lshl_add_u32 v66, v51, 1, 0
	v_lshl_add_u32 v65, v52, 1, 0
	;; [unrolled: 1-line block ×5, first 2 shown]
	ds_read_u16 v110, v40 offset:1248
	ds_read_u16 v111, v40 offset:1352
	ds_read_u16 v112, v40 offset:1456
	ds_read_u16 v113, v40 offset:1560
	ds_read_u16 v104, v40 offset:1664
	ds_read_u16 v105, v40 offset:1768
	ds_read_u16 v106, v40 offset:1872
	ds_read_u16 v107, v40 offset:1976
	ds_read_u16 v108, v40 offset:2080
	ds_read_u16 v101, v40 offset:2184
	ds_read_u16 v102, v40 offset:2288
	ds_read_u16 v78, v71
	ds_read_u16 v79, v39
	;; [unrolled: 1-line block ×3, first 2 shown]
	ds_read_u16 v103, v40 offset:2392
	ds_read_u16 v84, v80
	ds_read_u16 v90, v81
	ds_read_u16 v97, v82
	ds_read_u16 v69, v85
	ds_read_u16 v70, v86
	ds_read_u16 v71, v87
	ds_read_u16 v74, v88
	ds_read_u16 v75, v89
	ds_read_u16 v109, v40
	v_and_or_b32 v42, 0x7c, v35, v56
	v_and_or_b32 v58, 0x2fc, v46, v56
	;; [unrolled: 1-line block ×6, first 2 shown]
	v_lshl_add_u32 v67, v42, 1, 0
	v_lshl_add_u32 v61, v58, 1, 0
	;; [unrolled: 1-line block ×5, first 2 shown]
	v_and_or_b32 v59, 0x2fc, v47, v56
	v_lshl_add_u32 v56, v68, 1, 0
	s_waitcnt vmcnt(0) lgkmcnt(0)
	s_barrier
	buffer_gl0_inv
	v_lshl_add_u32 v59, v59, 1, 0
	v_cmp_gt_u32_e64 s0, 44, v12
	v_mul_f16_sdwa v42, v110, v43 dst_sel:DWORD dst_unused:UNUSED_PAD src0_sel:DWORD src1_sel:WORD_1
	v_mul_f16_sdwa v60, v111, v43 dst_sel:DWORD dst_unused:UNUSED_PAD src0_sel:DWORD src1_sel:WORD_1
	;; [unrolled: 1-line block ×12, first 2 shown]
	v_fmac_f16_e32 v42, v6, v43
	v_fmac_f16_e32 v60, v5, v43
	;; [unrolled: 1-line block ×12, first 2 shown]
	v_sub_f16_e32 v87, v83, v42
	v_sub_f16_e32 v115, v114, v60
	;; [unrolled: 1-line block ×12, first 2 shown]
	v_fma_f16 v76, v83, 2.0, -v87
	v_fma_f16 v83, v114, 2.0, -v115
	;; [unrolled: 1-line block ×7, first 2 shown]
	ds_write_b16 v67, v87 offset:4
	v_fma_f16 v68, v94, 2.0, -v63
	v_fma_f16 v89, v95, 2.0, -v60
	;; [unrolled: 1-line block ×5, first 2 shown]
	ds_write_b16 v67, v76
	ds_write_b16 v66, v83
	ds_write_b16 v66, v115 offset:4
	ds_write_b16 v65, v85
	ds_write_b16 v65, v116 offset:4
	;; [unrolled: 2-line block ×11, first 2 shown]
	s_waitcnt lgkmcnt(0)
	s_barrier
	buffer_gl0_inv
	ds_read_u16 v73, v40
	ds_read_u16 v100, v40 offset:192
	ds_read_u16 v99, v40 offset:384
	;; [unrolled: 1-line block ×12, first 2 shown]
                                        ; implicit-def: $vgpr95
                                        ; implicit-def: $vgpr96
	s_and_saveexec_b32 s1, s0
	s_cbranch_execz .LBB0_15
; %bb.14:
	ds_read_u16 v68, v40 offset:296
	ds_read_u16 v63, v40 offset:488
	;; [unrolled: 1-line block ×11, first 2 shown]
	ds_read_u16 v42, v41
	ds_read_u16 v95, v40 offset:2408
.LBB0_15:
	s_or_b32 exec_lo, exec_lo, s1
	v_mul_f16_sdwa v6, v6, v43 dst_sel:DWORD dst_unused:UNUSED_PAD src0_sel:DWORD src1_sel:WORD_1
	v_mul_f16_sdwa v5, v5, v43 dst_sel:DWORD dst_unused:UNUSED_PAD src0_sel:DWORD src1_sel:WORD_1
	;; [unrolled: 1-line block ×5, first 2 shown]
	v_fma_f16 v6, v110, v43, -v6
	v_fma_f16 v5, v111, v43, -v5
	v_mul_f16_sdwa v1, v1, v43 dst_sel:DWORD dst_unused:UNUSED_PAD src0_sel:DWORD src1_sel:WORD_1
	v_mul_f16_sdwa v0, v0, v43 dst_sel:DWORD dst_unused:UNUSED_PAD src0_sel:DWORD src1_sel:WORD_1
	v_mul_f16_sdwa v10, v10, v43 dst_sel:DWORD dst_unused:UNUSED_PAD src0_sel:DWORD src1_sel:WORD_1
	v_mul_f16_sdwa v9, v9, v43 dst_sel:DWORD dst_unused:UNUSED_PAD src0_sel:DWORD src1_sel:WORD_1
	v_mul_f16_sdwa v8, v8, v43 dst_sel:DWORD dst_unused:UNUSED_PAD src0_sel:DWORD src1_sel:WORD_1
	v_mul_f16_sdwa v7, v7, v43 dst_sel:DWORD dst_unused:UNUSED_PAD src0_sel:DWORD src1_sel:WORD_1
	v_mul_f16_sdwa v11, v11, v43 dst_sel:DWORD dst_unused:UNUSED_PAD src0_sel:DWORD src1_sel:WORD_1
	v_fma_f16 v4, v112, v43, -v4
	v_fma_f16 v3, v113, v43, -v3
	;; [unrolled: 1-line block ×7, first 2 shown]
	v_sub_f16_e32 v6, v109, v6
	v_sub_f16_e32 v5, v52, v5
	v_fma_f16 v8, v101, v43, -v8
	v_fma_f16 v7, v102, v43, -v7
	;; [unrolled: 1-line block ×3, first 2 shown]
	v_sub_f16_e32 v4, v79, v4
	v_fma_f16 v43, v109, 2.0, -v6
	v_fma_f16 v101, v52, 2.0, -v5
	v_sub_f16_e32 v3, v78, v3
	v_sub_f16_e32 v2, v84, v2
	;; [unrolled: 1-line block ×9, first 2 shown]
	v_fma_f16 v0, v79, 2.0, -v4
	v_fma_f16 v78, v78, 2.0, -v3
	;; [unrolled: 1-line block ×10, first 2 shown]
	s_waitcnt lgkmcnt(0)
	s_barrier
	buffer_gl0_inv
	ds_write_b16 v67, v43
	ds_write_b16 v67, v6 offset:4
	ds_write_b16 v66, v101
	ds_write_b16 v66, v5 offset:4
	;; [unrolled: 2-line block ×12, first 2 shown]
	s_waitcnt lgkmcnt(0)
	s_barrier
	buffer_gl0_inv
	ds_read_u16 v43, v40
	ds_read_u16 v129, v40 offset:192
	ds_read_u16 v128, v40 offset:384
	ds_read_u16 v127, v40 offset:576
	ds_read_u16 v126, v40 offset:768
	ds_read_u16 v125, v40 offset:960
	ds_read_u16 v124, v40 offset:1152
	ds_read_u16 v123, v40 offset:1344
	ds_read_u16 v122, v40 offset:1536
	ds_read_u16 v120, v40 offset:1728
	ds_read_u16 v118, v40 offset:1920
	ds_read_u16 v117, v40 offset:2112
	ds_read_u16 v116, v40 offset:2304
                                        ; implicit-def: $vgpr119
                                        ; implicit-def: $vgpr121
	s_and_saveexec_b32 s1, s0
	s_cbranch_execz .LBB0_17
; %bb.16:
	ds_read_u16 v113, v40 offset:296
	ds_read_u16 v103, v40 offset:488
	;; [unrolled: 1-line block ×11, first 2 shown]
	ds_read_u16 v52, v41
	ds_read_u16 v119, v40 offset:2408
.LBB0_17:
	s_or_b32 exec_lo, exec_lo, s1
	v_and_b32_e32 v51, 3, v12
	v_lshrrev_b32_e32 v55, 2, v12
	v_sub_nc_u32_e32 v69, 0, v46
	v_sub_nc_u32_e32 v46, 0, v50
	;; [unrolled: 1-line block ×3, first 2 shown]
	v_mul_u32_u24_e32 v0, 12, v51
	v_mul_u32_u24_e32 v55, 52, v55
	v_sub_nc_u32_e32 v44, 0, v44
	v_sub_nc_u32_e32 v70, 0, v45
	;; [unrolled: 1-line block ×3, first 2 shown]
	v_lshlrev_b32_e32 v8, 2, v0
	v_or_b32_e32 v54, v55, v51
	v_sub_nc_u32_e32 v47, 0, v48
	v_sub_nc_u32_e32 v48, 0, v49
	;; [unrolled: 1-line block ×3, first 2 shown]
	s_clause 0x2
	global_load_dwordx4 v[0:3], v8, s[12:13] offset:8
	global_load_dwordx4 v[4:7], v8, s[12:13] offset:24
	;; [unrolled: 1-line block ×3, first 2 shown]
	v_lshl_add_u32 v66, v54, 1, 0
	s_waitcnt vmcnt(0) lgkmcnt(0)
	s_barrier
	buffer_gl0_inv
	v_lshrrev_b32_e32 v53, 2, v26
	v_mul_f16_sdwa v114, v129, v0 dst_sel:DWORD dst_unused:UNUSED_PAD src0_sel:DWORD src1_sel:WORD_1
	v_mul_f16_sdwa v130, v100, v0 dst_sel:DWORD dst_unused:UNUSED_PAD src0_sel:DWORD src1_sel:WORD_1
	;; [unrolled: 1-line block ×41, first 2 shown]
	v_fmac_f16_e32 v114, v100, v0
	v_fma_f16 v129, v129, v0, -v130
	v_fmac_f16_e32 v102, v99, v1
	v_fma_f16 v100, v128, v1, -v131
	;; [unrolled: 2-line block ×11, first 2 shown]
	v_fma_f16 v91, v116, v11, -v141
	v_mul_f16_sdwa v144, v89, v2 dst_sel:DWORD dst_unused:UNUSED_PAD src0_sel:DWORD src1_sel:WORD_1
	v_mul_f16_sdwa v58, v104, v3 dst_sel:DWORD dst_unused:UNUSED_PAD src0_sel:DWORD src1_sel:WORD_1
	;; [unrolled: 1-line block ×7, first 2 shown]
	v_fmac_f16_e32 v115, v72, v11
	v_fmac_f16_e32 v67, v68, v0
	v_fma_f16 v72, v113, v0, -v142
	v_fmac_f16_e32 v64, v63, v1
	v_fma_f16 v68, v103, v1, -v143
	v_fmac_f16_e32 v61, v89, v2
	v_fmac_f16_e32 v56, v88, v4
	;; [unrolled: 1-line block ×3, first 2 shown]
	v_fma_f16 v0, v105, v5, -v147
	v_fmac_f16_e32 v55, v87, v6
	v_fma_f16 v1, v110, v6, -v148
	v_fmac_f16_e32 v57, v81, v7
	v_fmac_f16_e32 v59, v86, v8
	;; [unrolled: 1-line block ×3, first 2 shown]
	v_fma_f16 v5, v107, v9, -v151
	v_fmac_f16_e32 v65, v96, v10
	v_fmac_f16_e32 v71, v95, v11
	v_fma_f16 v6, v119, v11, -v153
	v_sub_f16_e32 v9, v129, v91
	v_sub_f16_e32 v11, v100, v99
	;; [unrolled: 1-line block ×6, first 2 shown]
	v_add_f16_e32 v96, v73, v114
	v_fma_f16 v63, v112, v2, -v144
	v_fmac_f16_e32 v58, v60, v3
	v_fma_f16 v60, v104, v3, -v145
	v_fma_f16 v2, v111, v4, -v146
	;; [unrolled: 1-line block ×5, first 2 shown]
	v_add_f16_e32 v8, v114, v115
	v_add_f16_e32 v10, v102, v109
	;; [unrolled: 1-line block ×6, first 2 shown]
	v_mul_f16_e32 v103, 0xb770, v9
	v_mul_f16_e32 v104, 0xba95, v9
	;; [unrolled: 1-line block ×36, first 2 shown]
	v_add_f16_e32 v96, v96, v102
	v_fmamk_f16 v137, v8, 0x3b15, v103
	v_fma_f16 v103, v8, 0x3b15, -v103
	v_fmamk_f16 v138, v8, 0x388b, v104
	v_fma_f16 v104, v8, 0x388b, -v104
	;; [unrolled: 2-line block ×36, first 2 shown]
	v_add_f16_e32 v95, v96, v97
	v_add_f16_e32 v96, v73, v137
	;; [unrolled: 1-line block ×71, first 2 shown]
	ds_write_b16 v66, v9 offset:8
	ds_write_b16 v66, v73 offset:16
	;; [unrolled: 1-line block ×3, first 2 shown]
	v_add_f16_e32 v9, v10, v109
	v_add_f16_e32 v11, v126, v11
	;; [unrolled: 1-line block ×9, first 2 shown]
	ds_write_b16 v66, v86 offset:32
	ds_write_b16 v66, v88 offset:40
	;; [unrolled: 1-line block ×4, first 2 shown]
	v_add_f16_e32 v8, v9, v115
	v_add_f16_e32 v11, v132, v11
	ds_write_b16 v66, v95 offset:64
	ds_write_b16 v66, v87 offset:72
	;; [unrolled: 1-line block ×4, first 2 shown]
	ds_write_b16 v66, v8
	ds_write_b16 v66, v11 offset:96
	s_and_saveexec_b32 s1, s0
	s_cbranch_execz .LBB0_19
; %bb.18:
	v_sub_f16_e32 v10, v72, v6
	v_add_f16_e32 v9, v67, v71
	v_sub_f16_e32 v73, v68, v7
	v_add_f16_e32 v11, v64, v65
	v_sub_f16_e32 v81, v63, v5
	v_mul_f16_e32 v96, 0xb3a8, v10
	v_add_f16_e32 v80, v61, v62
	v_mul_f16_e32 v103, 0x3770, v73
	v_sub_f16_e32 v86, v60, v4
	v_mul_f16_e32 v104, 0xb94e, v81
	v_fma_f16 v112, v9, 0xbbc4, -v96
	v_fmac_f16_e32 v96, 0xbbc4, v9
	v_fma_f16 v113, v11, 0x3b15, -v103
	v_mul_f16_e32 v108, 0xb94e, v10
	v_fma_f16 v116, v80, 0xb9fd, -v104
	v_add_f16_e32 v112, v42, v112
	v_fmac_f16_e32 v103, 0x3b15, v11
	v_add_f16_e32 v96, v42, v96
	v_add_f16_e32 v82, v58, v59
	v_sub_f16_e32 v88, v2, v3
	v_add_f16_e32 v112, v113, v112
	v_mul_f16_e32 v105, 0x3a95, v86
	v_mul_f16_e32 v110, 0x3bf1, v73
	v_fmac_f16_e32 v104, 0xb9fd, v80
	v_add_f16_e32 v96, v103, v96
	v_add_f16_e32 v103, v116, v112
	v_fma_f16 v112, v9, 0xb9fd, -v108
	v_add_f16_e32 v87, v56, v57
	v_mul_f16_e32 v106, 0xbb7b, v88
	v_mul_f16_e32 v111, 0xba95, v81
	v_fma_f16 v117, v82, 0x388b, -v105
	v_fmac_f16_e32 v105, 0x388b, v82
	v_fma_f16 v113, v11, 0x2fb7, -v110
	v_add_f16_e32 v96, v104, v96
	v_add_f16_e32 v104, v42, v112
	v_sub_f16_e32 v95, v0, v1
	v_fma_f16 v118, v87, 0xb5ac, -v106
	v_fmac_f16_e32 v106, 0xb5ac, v87
	v_add_f16_e32 v96, v105, v96
	v_add_f16_e32 v104, v113, v104
	v_fma_f16 v105, v80, 0x388b, -v111
	v_mul_f16_e32 v112, 0x33a8, v86
	v_add_f16_e32 v89, v54, v55
	v_mul_f16_e32 v107, 0x3bf1, v95
	v_add_f16_e32 v96, v106, v96
	v_fmac_f16_e32 v108, 0xb9fd, v9
	v_add_f16_e32 v104, v105, v104
	v_fma_f16 v105, v82, 0xbbc4, -v112
	v_mul_f16_e32 v106, 0x3770, v88
	v_fma_f16 v119, v89, 0x2fb7, -v107
	v_fmac_f16_e32 v107, 0x2fb7, v89
	v_add_f16_e32 v108, v42, v108
	v_fmac_f16_e32 v110, 0x2fb7, v11
	v_add_f16_e32 v104, v105, v104
	v_fma_f16 v105, v87, 0x3b15, -v106
	v_mul_f16_e32 v113, 0xbb7b, v10
	v_add_f16_e32 v96, v107, v96
	v_add_f16_e32 v107, v110, v108
	v_fmac_f16_e32 v111, 0x388b, v80
	v_add_f16_e32 v104, v105, v104
	v_fma_f16 v105, v9, 0xb5ac, -v113
	v_mul_f16_e32 v108, 0x394e, v73
	v_fmac_f16_e32 v112, 0xbbc4, v82
	v_add_f16_e32 v107, v111, v107
	v_mul_f16_e32 v116, 0x3770, v81
	v_add_f16_e32 v105, v42, v105
	v_fma_f16 v111, v11, 0xb9fd, -v108
	v_fmac_f16_e32 v113, 0xb5ac, v9
	v_mul_f16_e32 v110, 0xbb7b, v95
	v_add_f16_e32 v107, v112, v107
	v_fmac_f16_e32 v106, 0x3b15, v87
	v_add_f16_e32 v105, v111, v105
	v_fma_f16 v111, v80, 0x3b15, -v116
	v_mul_f16_e32 v112, 0xbbf1, v86
	v_add_f16_e32 v113, v42, v113
	v_fmac_f16_e32 v108, 0xb9fd, v11
	v_add_f16_e32 v103, v117, v103
	v_fma_f16 v117, v89, 0xb5ac, -v110
	v_add_f16_e32 v106, v106, v107
	v_add_f16_e32 v105, v111, v105
	v_fma_f16 v107, v82, 0x2fb7, -v112
	v_mul_f16_e32 v111, 0x33a8, v88
	v_add_f16_e32 v108, v108, v113
	v_fmac_f16_e32 v116, 0x3b15, v80
	v_add_f16_e32 v104, v117, v104
	v_fmac_f16_e32 v110, 0xb5ac, v89
	v_add_f16_e32 v105, v107, v105
	v_fma_f16 v107, v87, 0xbbc4, -v111
	v_mul_f16_e32 v117, 0xbbf1, v10
	v_add_f16_e32 v108, v116, v108
	v_fmac_f16_e32 v112, 0x2fb7, v82
	v_add_f16_e32 v8, v42, v67
	v_add_f16_e32 v103, v118, v103
	;; [unrolled: 1-line block ×4, first 2 shown]
	v_fma_f16 v107, v9, 0x2fb7, -v117
	v_mul_f16_e32 v110, 0xb3a8, v73
	v_mul_f16_e32 v113, 0x3a95, v95
	v_add_f16_e32 v108, v112, v108
	v_fmac_f16_e32 v111, 0xbbc4, v87
	v_add_f16_e32 v8, v8, v64
	v_add_f16_e32 v103, v119, v103
	;; [unrolled: 1-line block ×3, first 2 shown]
	v_fma_f16 v116, v11, 0xbbc4, -v110
	v_mul_f16_e32 v118, 0x3b7b, v81
	v_fma_f16 v119, v89, 0x388b, -v113
	v_add_f16_e32 v108, v111, v108
	v_fmac_f16_e32 v117, 0x2fb7, v9
	v_fmac_f16_e32 v113, 0x388b, v89
	v_add_f16_e32 v8, v8, v61
	v_add_f16_e32 v107, v116, v107
	v_fma_f16 v112, v80, 0xb5ac, -v118
	v_mul_f16_e32 v116, 0x3770, v86
	v_add_f16_e32 v117, v42, v117
	v_fmac_f16_e32 v110, 0xbbc4, v11
	v_add_f16_e32 v108, v113, v108
	v_mul_f16_e32 v113, 0xba95, v10
	v_add_f16_e32 v8, v8, v58
	v_add_f16_e32 v105, v119, v105
	v_add_f16_e32 v107, v112, v107
	v_fma_f16 v111, v82, 0x3b15, -v116
	v_mul_f16_e32 v112, 0xba95, v88
	v_add_f16_e32 v110, v110, v117
	v_fmac_f16_e32 v118, 0xb5ac, v80
	v_fma_f16 v117, v9, 0x388b, -v113
	v_mul_f16_e32 v119, 0xbb7b, v73
	v_fmac_f16_e32 v113, 0x388b, v9
	v_add_f16_e32 v8, v8, v56
	v_add_f16_e32 v107, v111, v107
	v_fma_f16 v111, v87, 0x388b, -v112
	v_add_f16_e32 v110, v118, v110
	v_fmac_f16_e32 v116, 0x3b15, v82
	v_add_f16_e32 v117, v42, v117
	v_fma_f16 v120, v11, 0xb5ac, -v119
	v_mul_f16_e32 v121, 0xb3a8, v81
	v_add_f16_e32 v113, v42, v113
	v_fmac_f16_e32 v119, 0xb5ac, v11
	v_mul_f16_e32 v10, 0xb770, v10
	v_add_f16_e32 v8, v8, v54
	v_add_f16_e32 v107, v111, v107
	v_mul_f16_e32 v111, 0xb94e, v95
	v_add_f16_e32 v110, v116, v110
	v_add_f16_e32 v116, v120, v117
	v_fma_f16 v117, v80, 0xbbc4, -v121
	v_add_f16_e32 v113, v119, v113
	v_fmac_f16_e32 v121, 0xbbc4, v80
	v_mul_f16_e32 v73, 0xba95, v73
	v_fma_f16 v119, v9, 0x3b15, -v10
	v_fmac_f16_e32 v10, 0x3b15, v9
	v_add_f16_e32 v8, v8, v55
	v_fma_f16 v118, v89, 0xb9fd, -v111
	v_add_f16_e32 v9, v121, v113
	v_fma_f16 v113, v11, 0x388b, -v73
	v_mul_f16_e32 v81, 0xbbf1, v81
	v_add_f16_e32 v10, v42, v10
	v_fmac_f16_e32 v73, 0x388b, v11
	v_add_f16_e32 v8, v8, v57
	v_add_f16_e32 v107, v118, v107
	v_mul_f16_e32 v118, 0x394e, v86
	v_add_f16_e32 v11, v42, v119
	v_fma_f16 v42, v80, 0x2fb7, -v81
	v_mul_f16_e32 v86, 0xbb7b, v86
	v_add_f16_e32 v10, v73, v10
	v_fmac_f16_e32 v81, 0x2fb7, v80
	v_fmac_f16_e32 v112, 0x388b, v87
	v_add_f16_e32 v8, v8, v59
	v_add_f16_e32 v11, v113, v11
	v_mul_f16_e32 v73, 0xb94e, v88
	v_fma_f16 v80, v82, 0xb5ac, -v86
	v_add_f16_e32 v10, v81, v10
	v_fmac_f16_e32 v86, 0xb5ac, v82
	v_add_f16_e32 v110, v112, v110
	v_fmac_f16_e32 v111, 0xb9fd, v89
	v_add_f16_e32 v112, v117, v116
	v_fma_f16 v116, v82, 0xb9fd, -v118
	v_mul_f16_e32 v117, 0x3bf1, v88
	v_fmac_f16_e32 v118, 0xb9fd, v82
	v_mul_lo_u32 v82, v53, 52
	v_add_f16_e32 v8, v8, v62
	v_add_f16_e32 v11, v42, v11
	v_fma_f16 v42, v87, 0xb9fd, -v73
	v_add_f16_e32 v10, v86, v10
	v_fmac_f16_e32 v73, 0xb9fd, v87
	v_mul_f16_e32 v81, 0xb3a8, v95
	v_add_f16_e32 v110, v111, v110
	v_add_f16_e32 v111, v116, v112
	v_fma_f16 v112, v87, 0x2fb7, -v117
	v_mul_f16_e32 v116, 0x3770, v95
	v_add_f16_e32 v9, v118, v9
	v_fmac_f16_e32 v117, 0x2fb7, v87
	v_add_f16_e32 v8, v8, v65
	v_add_f16_e32 v11, v80, v11
	;; [unrolled: 1-line block ×3, first 2 shown]
	v_or_b32_e32 v73, v82, v51
	v_fma_f16 v80, v89, 0xbbc4, -v81
	v_fmac_f16_e32 v81, 0xbbc4, v89
	v_fma_f16 v86, v89, 0x3b15, -v116
	v_add_f16_e32 v9, v117, v9
	v_fmac_f16_e32 v116, 0x3b15, v89
	v_add_f16_e32 v8, v8, v71
	v_add_f16_e32 v82, v112, v111
	;; [unrolled: 1-line block ×3, first 2 shown]
	v_lshl_add_u32 v42, v73, 1, 0
	v_add_f16_e32 v10, v81, v10
	v_add_f16_e32 v9, v116, v9
	;; [unrolled: 1-line block ×4, first 2 shown]
	ds_write_b16 v42, v8
	ds_write_b16 v42, v10 offset:8
	ds_write_b16 v42, v9 offset:16
	;; [unrolled: 1-line block ×12, first 2 shown]
.LBB0_19:
	s_or_b32 exec_lo, exec_lo, s1
	v_add_f16_e32 v8, v43, v129
	v_add_f16_e32 v9, v129, v91
	v_sub_f16_e32 v10, v114, v115
	v_add_f16_e32 v11, v100, v99
	v_sub_f16_e32 v42, v102, v109
	v_add_f16_e32 v8, v8, v100
	v_mul_f16_e32 v73, 0x3b15, v9
	v_mul_f16_e32 v80, 0x388b, v9
	;; [unrolled: 1-line block ×4, first 2 shown]
	v_add_f16_e32 v8, v8, v98
	v_mul_f16_e32 v86, 0xb9fd, v9
	v_mul_f16_e32 v9, 0xbbc4, v9
	;; [unrolled: 1-line block ×3, first 2 shown]
	v_fmamk_f16 v95, v10, 0x3770, v73
	v_add_f16_e32 v8, v8, v93
	v_fmac_f16_e32 v73, 0xb770, v10
	v_mul_f16_e32 v88, 0xb5ac, v11
	v_fmamk_f16 v96, v10, 0x3a95, v80
	v_fmac_f16_e32 v80, 0xba95, v10
	v_add_f16_e32 v8, v8, v83
	v_fmamk_f16 v100, v10, 0x3bf1, v81
	v_fmac_f16_e32 v81, 0xbbf1, v10
	v_fmamk_f16 v102, v10, 0x3b7b, v82
	v_fmac_f16_e32 v82, 0xbb7b, v10
	v_add_f16_e32 v8, v8, v76
	v_fmamk_f16 v103, v10, 0x394e, v86
	v_fmac_f16_e32 v86, 0xb94e, v10
	;; [unrolled: 5-line block ×3, first 2 shown]
	v_add_f16_e32 v73, v43, v73
	v_mul_f16_e32 v89, 0xbbc4, v11
	v_add_f16_e32 v8, v8, v85
	v_fmamk_f16 v105, v42, 0x3b7b, v88
	v_fmac_f16_e32 v88, 0xbb7b, v42
	v_add_f16_e32 v95, v43, v95
	v_add_f16_e32 v96, v43, v96
	;; [unrolled: 1-line block ×18, first 2 shown]
	v_mul_f16_e32 v8, 0xb9fd, v11
	v_fmamk_f16 v88, v42, 0x33a8, v89
	v_fmac_f16_e32 v89, 0xb3a8, v42
	v_mul_f16_e32 v91, 0x2fb7, v11
	v_mul_f16_e32 v11, 0x3b15, v11
	v_fmamk_f16 v95, v42, 0xb94e, v8
	v_fmac_f16_e32 v8, 0x394e, v42
	v_add_f16_e32 v81, v89, v81
	v_fmamk_f16 v89, v42, 0xbbf1, v91
	v_fmac_f16_e32 v91, 0x3bf1, v42
	v_add_f16_e32 v73, v105, v96
	v_add_f16_e32 v8, v8, v82
	;; [unrolled: 1-line block ×3, first 2 shown]
	v_sub_f16_e32 v92, v97, v101
	v_fmamk_f16 v97, v42, 0xb770, v11
	v_fmac_f16_e32 v11, 0x3770, v42
	v_add_f16_e32 v42, v91, v86
	v_mul_f16_e32 v86, 0xbbc4, v82
	v_mul_f16_e32 v96, 0x2fb7, v82
	v_add_f16_e32 v88, v88, v100
	v_add_f16_e32 v9, v11, v9
	;; [unrolled: 1-line block ×3, first 2 shown]
	v_fmamk_f16 v11, v92, 0x33a8, v86
	v_fmamk_f16 v91, v92, 0x3bf1, v96
	v_fmac_f16_e32 v96, 0xbbf1, v92
	v_fmac_f16_e32 v86, 0xb3a8, v92
	v_sub_f16_e32 v84, v84, v90
	v_add_f16_e32 v11, v11, v73
	v_mul_f16_e32 v73, 0x3b15, v82
	v_add_f16_e32 v10, v91, v10
	v_mul_f16_e32 v91, 0xb5ac, v82
	v_add_f16_e32 v43, v96, v43
	v_add_f16_e32 v80, v86, v80
	v_fmamk_f16 v98, v92, 0xb770, v73
	v_fmac_f16_e32 v73, 0x3770, v92
	v_fmamk_f16 v86, v92, 0xbb7b, v91
	v_mul_f16_e32 v96, 0x388b, v82
	v_mul_f16_e32 v82, 0xb9fd, v82
	v_fmac_f16_e32 v91, 0x3b7b, v92
	v_add_f16_e32 v8, v73, v8
	v_add_f16_e32 v73, v93, v94
	;; [unrolled: 1-line block ×3, first 2 shown]
	v_fmamk_f16 v88, v92, 0x3a95, v96
	v_fmac_f16_e32 v96, 0xba95, v92
	v_fmamk_f16 v90, v92, 0x394e, v82
	v_fmac_f16_e32 v82, 0xb94e, v92
	v_mul_f16_e32 v92, 0xb9fd, v73
	v_add_f16_e32 v88, v88, v89
	v_mul_f16_e32 v89, 0xb5ac, v73
	v_sub_f16_e32 v78, v78, v79
	v_add_f16_e32 v9, v82, v9
	v_fmamk_f16 v82, v84, 0xb94e, v92
	v_fmac_f16_e32 v92, 0x394e, v84
	v_fmamk_f16 v93, v84, 0x3b7b, v89
	v_fmac_f16_e32 v89, 0xbb7b, v84
	v_add_f16_e32 v95, v95, v102
	v_add_f16_e32 v11, v82, v11
	v_mul_f16_e32 v82, 0x2fb7, v73
	v_add_f16_e32 v10, v93, v10
	v_mul_f16_e32 v93, 0x3b15, v73
	v_add_f16_e32 v43, v89, v43
	v_add_f16_e32 v80, v92, v80
	v_fmamk_f16 v94, v84, 0x3bf1, v82
	v_fmac_f16_e32 v82, 0xbbf1, v84
	v_fmamk_f16 v89, v84, 0xb770, v93
	v_mul_f16_e32 v92, 0xbbc4, v73
	v_mul_f16_e32 v73, 0x388b, v73
	v_fmac_f16_e32 v93, 0x3770, v84
	v_add_f16_e32 v8, v82, v8
	v_add_f16_e32 v82, v83, v85
	;; [unrolled: 1-line block ×3, first 2 shown]
	v_fmamk_f16 v89, v84, 0xb3a8, v92
	v_fmac_f16_e32 v92, 0x33a8, v84
	v_fmamk_f16 v85, v84, 0xba95, v73
	v_mul_f16_e32 v79, 0xb9fd, v82
	v_fmac_f16_e32 v73, 0x3a95, v84
	v_mul_f16_e32 v84, 0x2fb7, v82
	v_add_f16_e32 v83, v89, v88
	v_add_f16_e32 v97, v97, v104
	v_fmamk_f16 v88, v78, 0x394e, v79
	v_add_f16_e32 v9, v73, v9
	v_fmamk_f16 v73, v78, 0xbbf1, v84
	v_fmac_f16_e32 v79, 0xb94e, v78
	v_fmac_f16_e32 v84, 0x3bf1, v78
	v_add_f16_e32 v10, v88, v10
	v_mul_f16_e32 v88, 0x388b, v82
	v_add_f16_e32 v11, v73, v11
	v_mul_f16_e32 v73, 0xbbc4, v82
	v_add_f16_e32 v42, v96, v42
	v_add_f16_e32 v43, v79, v43
	v_fmamk_f16 v79, v78, 0x3a95, v88
	v_add_f16_e32 v80, v84, v80
	v_mul_f16_e32 v84, 0x3b15, v82
	v_fmamk_f16 v89, v78, 0xb3a8, v73
	v_fmac_f16_e32 v73, 0x33a8, v78
	v_add_f16_e32 v81, v91, v81
	v_add_f16_e32 v91, v98, v95
	;; [unrolled: 1-line block ×5, first 2 shown]
	v_fmamk_f16 v86, v78, 0xb770, v84
	v_mul_f16_e32 v82, 0xb5ac, v82
	v_add_f16_e32 v8, v73, v8
	v_add_f16_e32 v73, v76, v77
	v_fmac_f16_e32 v84, 0x3770, v78
	v_add_f16_e32 v81, v93, v81
	v_add_f16_e32 v91, v94, v91
	;; [unrolled: 1-line block ×3, first 2 shown]
	v_fmac_f16_e32 v88, 0xba95, v78
	v_add_f16_e32 v76, v86, v83
	v_fmamk_f16 v77, v78, 0x3b7b, v82
	v_sub_f16_e32 v74, v74, v75
	v_mul_f16_e32 v75, 0xbbc4, v73
	v_fmac_f16_e32 v82, 0xbb7b, v78
	v_add_f16_e32 v86, v84, v42
	v_mul_f16_e32 v42, 0x3b15, v73
	v_add_f16_e32 v81, v88, v81
	v_add_f16_e32 v88, v89, v91
	;; [unrolled: 1-line block ×3, first 2 shown]
	v_fmamk_f16 v77, v74, 0x33a8, v75
	v_add_f16_e32 v89, v82, v9
	v_fmamk_f16 v9, v74, 0xb770, v42
	v_mul_f16_e32 v78, 0xb9fd, v73
	v_fmac_f16_e32 v42, 0x3770, v74
	v_add_f16_e32 v90, v77, v10
	v_mul_f16_e32 v10, 0x388b, v73
	v_add_f16_e32 v92, v9, v11
	v_fmamk_f16 v9, v74, 0x394e, v78
	v_mul_f16_e32 v94, 0xb5ac, v73
	v_fmac_f16_e32 v75, 0xb3a8, v74
	v_add_f16_e32 v93, v42, v80
	v_fmac_f16_e32 v78, 0xb94e, v74
	v_add_f16_e32 v95, v9, v79
	v_fmamk_f16 v9, v74, 0xba95, v10
	v_fmac_f16_e32 v10, 0x3a95, v74
	v_fmamk_f16 v11, v74, 0x3b7b, v94
	v_mul_f16_e32 v97, 0x2fb7, v73
	v_add_nc_u32_e32 v42, v13, v70
	v_add_f16_e32 v91, v75, v43
	v_add_nc_u32_e32 v44, v29, v44
	v_add_nc_u32_e32 v43, v24, v69
	;; [unrolled: 1-line block ×5, first 2 shown]
	v_add_f16_e32 v96, v78, v81
	v_add_f16_e32 v88, v9, v88
	;; [unrolled: 1-line block ×4, first 2 shown]
	v_fmac_f16_e32 v94, 0xbb7b, v74
	v_fmamk_f16 v100, v74, 0xbbf1, v97
	v_fmac_f16_e32 v97, 0x3bf1, v74
	s_waitcnt lgkmcnt(0)
	s_barrier
	buffer_gl0_inv
	ds_read_u16 v9, v39
	ds_read_u16 v8, v44
	;; [unrolled: 1-line block ×3, first 2 shown]
	ds_read_u16 v83, v40 offset:1248
	ds_read_u16 v82, v40 offset:1352
	;; [unrolled: 1-line block ×7, first 2 shown]
	v_add_nc_u32_e32 v48, v36, v48
	v_add_nc_u32_e32 v49, v38, v49
	ds_read_u16 v79, v40 offset:1976
	ds_read_u16 v78, v40 offset:2080
	;; [unrolled: 1-line block ×4, first 2 shown]
	v_add_nc_u32_e32 v50, v31, v50
	ds_read_u16 v33, v42
	ds_read_u16 v31, v43
	;; [unrolled: 1-line block ×9, first 2 shown]
	ds_read_u16 v80, v40 offset:2392
	v_add_f16_e32 v13, v94, v86
	v_add_f16_e32 v36, v100, v85
	;; [unrolled: 1-line block ×3, first 2 shown]
	s_waitcnt lgkmcnt(0)
	s_barrier
	buffer_gl0_inv
	ds_write_b16 v66, v87
	ds_write_b16 v66, v90 offset:8
	ds_write_b16 v66, v92 offset:16
	ds_write_b16 v66, v95 offset:24
	ds_write_b16 v66, v88 offset:32
	ds_write_b16 v66, v99 offset:40
	ds_write_b16 v66, v36 offset:48
	ds_write_b16 v66, v38 offset:56
	ds_write_b16 v66, v13 offset:64
	ds_write_b16 v66, v98 offset:72
	ds_write_b16 v66, v96 offset:80
	ds_write_b16 v66, v93 offset:88
	ds_write_b16 v66, v91 offset:96
	s_and_saveexec_b32 s1, s0
	s_cbranch_execz .LBB0_21
; %bb.20:
	v_add_f16_e32 v13, v52, v72
	v_add_f16_e32 v36, v72, v6
	v_sub_f16_e32 v38, v67, v71
	v_add_f16_e32 v66, v68, v7
	v_sub_f16_e32 v64, v64, v65
	v_add_f16_e32 v13, v13, v68
	v_mul_f16_e32 v67, 0x388b, v36
	v_mul_f16_e32 v65, 0x3b15, v36
	;; [unrolled: 1-line block ×4, first 2 shown]
	v_add_f16_e32 v13, v13, v63
	v_fmamk_f16 v90, v38, 0x3a95, v67
	v_fmac_f16_e32 v67, 0xba95, v38
	v_mul_f16_e32 v71, 0xb5ac, v36
	v_mul_f16_e32 v72, 0xb9fd, v36
	v_add_f16_e32 v13, v13, v60
	v_mul_f16_e32 v36, 0xbbc4, v36
	v_mul_f16_e32 v85, 0x388b, v66
	v_fmamk_f16 v89, v38, 0x3770, v65
	v_fmac_f16_e32 v65, 0xb770, v38
	v_add_f16_e32 v13, v13, v2
	v_fmamk_f16 v95, v64, 0x3b7b, v86
	v_fmac_f16_e32 v86, 0xbb7b, v64
	v_add_f16_e32 v67, v52, v67
	v_mul_f16_e32 v87, 0xbbc4, v66
	v_add_f16_e32 v13, v13, v0
	v_fmamk_f16 v91, v38, 0x3bf1, v68
	v_fmac_f16_e32 v68, 0xbbf1, v38
	v_fmamk_f16 v92, v38, 0x3b7b, v71
	v_fmac_f16_e32 v71, 0xbb7b, v38
	v_add_f16_e32 v13, v13, v1
	v_fmamk_f16 v93, v38, 0x394e, v72
	v_fmac_f16_e32 v72, 0xb94e, v38
	v_fmamk_f16 v94, v38, 0x33a8, v36
	v_fmac_f16_e32 v36, 0xb3a8, v38
	v_add_f16_e32 v13, v13, v3
	v_fmamk_f16 v38, v64, 0x3a95, v85
	v_fmac_f16_e32 v85, 0xba95, v64
	v_add_f16_e32 v65, v52, v65
	v_add_f16_e32 v67, v86, v67
	;; [unrolled: 1-line block ×3, first 2 shown]
	v_mul_f16_e32 v86, 0x2fb7, v66
	v_mul_f16_e32 v88, 0xb9fd, v66
	v_add_f16_e32 v89, v52, v89
	v_add_f16_e32 v90, v52, v90
	;; [unrolled: 1-line block ×14, first 2 shown]
	v_fmamk_f16 v65, v64, 0x33a8, v87
	v_fmac_f16_e32 v87, 0xb3a8, v64
	v_fmamk_f16 v63, v64, 0xbbf1, v86
	v_mul_f16_e32 v66, 0x3b15, v66
	v_fmac_f16_e32 v86, 0x3bf1, v64
	v_sub_f16_e32 v61, v61, v62
	v_mul_f16_e32 v62, 0x2fb7, v5
	v_add_f16_e32 v38, v38, v89
	v_fmamk_f16 v85, v64, 0xb94e, v88
	v_fmac_f16_e32 v88, 0x394e, v64
	v_add_f16_e32 v68, v87, v68
	v_fmamk_f16 v87, v64, 0xb770, v66
	v_fmac_f16_e32 v66, 0x3770, v64
	v_add_f16_e32 v64, v86, v72
	v_fmamk_f16 v72, v61, 0x3bf1, v62
	v_mul_f16_e32 v86, 0xbbc4, v5
	v_add_f16_e32 v6, v7, v6
	v_add_f16_e32 v7, v95, v90
	;; [unrolled: 1-line block ×4, first 2 shown]
	v_fmamk_f16 v66, v61, 0x33a8, v86
	v_mul_f16_e32 v72, 0xb5ac, v5
	v_add_f16_e32 v65, v65, v91
	v_fmac_f16_e32 v62, 0xbbf1, v61
	v_add_f16_e32 v4, v60, v4
	v_add_f16_e32 v7, v66, v7
	v_fmamk_f16 v66, v61, 0xbb7b, v72
	v_add_f16_e32 v63, v63, v93
	v_fmac_f16_e32 v86, 0xb3a8, v61
	v_add_f16_e32 v52, v62, v52
	v_mul_f16_e32 v62, 0x3b15, v5
	v_add_f16_e32 v65, v66, v65
	v_mul_f16_e32 v66, 0x388b, v5
	v_mul_f16_e32 v5, 0xb9fd, v5
	v_sub_f16_e32 v58, v58, v59
	v_mul_f16_e32 v59, 0xb5ac, v4
	v_add_f16_e32 v13, v87, v13
	v_fmamk_f16 v60, v61, 0x3a95, v66
	v_fmac_f16_e32 v66, 0xba95, v61
	v_add_f16_e32 v67, v86, v67
	v_fmac_f16_e32 v72, 0x3b7b, v61
	v_fmamk_f16 v86, v61, 0xb770, v62
	v_fmac_f16_e32 v62, 0x3770, v61
	v_add_f16_e32 v60, v60, v63
	v_fmamk_f16 v63, v61, 0x394e, v5
	v_fmac_f16_e32 v5, 0xb94e, v61
	v_add_f16_e32 v61, v66, v64
	v_fmamk_f16 v64, v58, 0x3b7b, v59
	v_mul_f16_e32 v66, 0xb9fd, v4
	v_add_f16_e32 v13, v63, v13
	v_add_f16_e32 v5, v5, v36
	v_mul_f16_e32 v63, 0x3b15, v4
	v_add_f16_e32 v36, v64, v38
	v_fmamk_f16 v38, v58, 0xb94e, v66
	v_fmac_f16_e32 v59, 0xbb7b, v58
	v_add_f16_e32 v71, v88, v71
	v_fmac_f16_e32 v66, 0x394e, v58
	v_add_f16_e32 v2, v2, v3
	v_add_f16_e32 v7, v38, v7
	v_fmamk_f16 v38, v58, 0xb770, v63
	v_add_f16_e32 v52, v59, v52
	v_mul_f16_e32 v59, 0x2fb7, v4
	v_add_f16_e32 v62, v62, v71
	v_add_f16_e32 v64, v66, v67
	v_add_f16_e32 v38, v38, v65
	v_mul_f16_e32 v65, 0xbbc4, v4
	v_fmamk_f16 v66, v58, 0x3bf1, v59
	v_fmac_f16_e32 v59, 0xbbf1, v58
	v_mul_f16_e32 v4, 0x388b, v4
	v_sub_f16_e32 v56, v56, v57
	v_fmamk_f16 v3, v58, 0xb3a8, v65
	v_fmac_f16_e32 v65, 0x33a8, v58
	v_mul_f16_e32 v57, 0xb9fd, v2
	v_fmac_f16_e32 v63, 0x3770, v58
	v_add_f16_e32 v59, v59, v62
	v_add_f16_e32 v3, v3, v60
	v_fmamk_f16 v60, v58, 0xba95, v4
	v_fmac_f16_e32 v4, 0x3a95, v58
	v_add_f16_e32 v58, v65, v61
	v_fmamk_f16 v61, v56, 0x394e, v57
	v_mul_f16_e32 v62, 0x2fb7, v2
	v_add_f16_e32 v13, v60, v13
	v_add_f16_e32 v4, v4, v5
	v_mul_f16_e32 v60, 0x388b, v2
	v_add_f16_e32 v5, v61, v36
	v_fmamk_f16 v36, v56, 0xbbf1, v62
	v_fmac_f16_e32 v57, 0xb94e, v56
	v_add_f16_e32 v0, v0, v1
	v_fmac_f16_e32 v62, 0x3bf1, v56
	v_sub_f16_e32 v54, v54, v55
	v_add_f16_e32 v7, v36, v7
	v_fmamk_f16 v36, v56, 0x3a95, v60
	v_add_f16_e32 v52, v57, v52
	v_mul_f16_e32 v57, 0xbbc4, v2
	v_mul_f16_e32 v55, 0xbbc4, v0
	v_add_f16_e32 v61, v62, v64
	v_add_f16_e32 v36, v36, v38
	v_mul_f16_e32 v38, 0x3b15, v2
	v_mul_f16_e32 v2, 0xb5ac, v2
	v_fmac_f16_e32 v60, 0xba95, v56
	v_fmamk_f16 v62, v56, 0xb3a8, v57
	v_fmac_f16_e32 v57, 0x33a8, v56
	v_fmamk_f16 v1, v56, 0xb770, v38
	v_fmac_f16_e32 v38, 0x3770, v56
	v_add_f16_e32 v85, v85, v92
	v_mul_lo_u32 v53, v53, 52
	v_add_f16_e32 v68, v72, v68
	v_add_f16_e32 v1, v1, v3
	v_fmamk_f16 v3, v56, 0x3b7b, v2
	v_fmac_f16_e32 v2, 0xbb7b, v56
	v_add_f16_e32 v38, v38, v58
	v_fmamk_f16 v56, v54, 0x33a8, v55
	v_mul_f16_e32 v58, 0x3b15, v0
	v_add_f16_e32 v3, v3, v13
	v_add_f16_e32 v2, v2, v4
	v_fmac_f16_e32 v55, 0xb3a8, v54
	v_add_f16_e32 v4, v56, v5
	v_fmamk_f16 v5, v54, 0xb770, v58
	v_mul_f16_e32 v13, 0xb9fd, v0
	v_add_f16_e32 v72, v86, v85
	v_fmac_f16_e32 v58, 0x3770, v54
	v_add_f16_e32 v52, v55, v52
	v_mul_f16_e32 v55, 0x388b, v0
	v_add_f16_e32 v5, v5, v7
	v_fmamk_f16 v7, v54, 0x394e, v13
	v_add_f16_e32 v66, v66, v72
	v_add_f16_e32 v63, v63, v68
	;; [unrolled: 1-line block ×4, first 2 shown]
	v_fmamk_f16 v58, v54, 0xba95, v55
	v_add_f16_e32 v7, v7, v36
	v_fmac_f16_e32 v55, 0x3a95, v54
	v_mul_f16_e32 v36, 0xb5ac, v0
	v_mul_f16_e32 v0, 0x2fb7, v0
	v_or_b32_e32 v51, v53, v51
	v_add_f16_e32 v62, v62, v66
	v_add_f16_e32 v60, v60, v63
	v_fmac_f16_e32 v13, 0xb94e, v54
	v_add_f16_e32 v55, v55, v57
	v_fmamk_f16 v53, v54, 0x3b7b, v36
	v_fmac_f16_e32 v36, 0xbb7b, v54
	v_fmamk_f16 v57, v54, 0xbbf1, v0
	v_fmac_f16_e32 v0, 0x3bf1, v54
	v_lshl_add_u32 v51, v51, 1, 0
	v_add_f16_e32 v58, v58, v62
	v_add_f16_e32 v13, v13, v60
	;; [unrolled: 1-line block ×6, first 2 shown]
	ds_write_b16 v51, v6
	ds_write_b16 v51, v4 offset:8
	ds_write_b16 v51, v5 offset:16
	;; [unrolled: 1-line block ×12, first 2 shown]
.LBB0_21:
	s_or_b32 exec_lo, exec_lo, s1
	v_and_b32_e32 v0, 0xff, v28
	v_and_b32_e32 v2, 0xff, v30
	v_mov_b32_e32 v4, 0x4ec5
	v_mov_b32_e32 v13, 0
	s_waitcnt lgkmcnt(0)
	v_mul_lo_u16 v3, 0x4f, v0
	v_mul_lo_u16 v2, 0x4f, v2
	v_mul_u32_u24_sdwa v51, v18, v4 dst_sel:DWORD dst_unused:UNUSED_PAD src0_sel:WORD_0 src1_sel:DWORD
	v_mul_u32_u24_sdwa v5, v32, v4 dst_sel:DWORD dst_unused:UNUSED_PAD src0_sel:WORD_0 src1_sel:DWORD
	;; [unrolled: 1-line block ×3, first 2 shown]
	v_lshrrev_b16 v3, 12, v3
	v_lshrrev_b16 v2, 12, v2
	v_mul_u32_u24_sdwa v56, v20, v4 dst_sel:DWORD dst_unused:UNUSED_PAD src0_sel:WORD_0 src1_sel:DWORD
	v_lshrrev_b32_e32 v36, 20, v5
	v_lshrrev_b32_e32 v38, 20, v6
	v_mul_lo_u16 v3, v3, 52
	v_mul_lo_u16 v2, v2, 52
	v_mul_u32_u24_sdwa v61, v21, v4 dst_sel:DWORD dst_unused:UNUSED_PAD src0_sel:WORD_0 src1_sel:DWORD
	v_mul_u32_u24_sdwa v62, v23, v4 dst_sel:DWORD dst_unused:UNUSED_PAD src0_sel:WORD_0 src1_sel:DWORD
	v_lshlrev_b64 v[0:1], 2, v[12:13]
	v_sub_nc_u16 v3, v28, v3
	v_sub_nc_u16 v2, v30, v2
	v_lshrrev_b32_e32 v61, 20, v61
	v_lshrrev_b32_e32 v62, 20, v62
	s_barrier
	v_and_b32_e32 v52, 0xff, v3
	v_lshrrev_b32_e32 v3, 20, v51
	v_and_b32_e32 v53, 0xff, v2
	v_mul_lo_u16 v2, v36, 52
	v_mul_lo_u16 v36, v38, 52
	v_add_co_u32 v0, s0, s12, v0
	v_mul_lo_u16 v3, v3, 52
	v_sub_nc_u16 v55, v32, v2
	v_sub_nc_u16 v36, v34, v36
	v_mul_u32_u24_sdwa v2, v19, v4 dst_sel:DWORD dst_unused:UNUSED_PAD src0_sel:WORD_0 src1_sel:DWORD
	v_mul_u32_u24_sdwa v4, v25, v4 dst_sel:DWORD dst_unused:UNUSED_PAD src0_sel:WORD_0 src1_sel:DWORD
	v_sub_nc_u16 v3, v18, v3
	v_add_co_ci_u32_e64 v1, s0, s13, v1, s0
	v_and_b32_e32 v57, 0xffff, v36
	v_lshrrev_b32_e32 v36, 20, v2
	v_and_b32_e32 v58, 0xffff, v3
	v_lshrrev_b32_e32 v3, 20, v56
	v_lshrrev_b32_e32 v4, 20, v4
	buffer_gl0_inv
	v_mul_lo_u16 v36, v36, 52
	global_load_dword v7, v[0:1], off offset:200
	v_mul_lo_u16 v3, v3, 52
	v_mul_lo_u16 v4, v4, 52
	v_and_b32_e32 v55, 0xffff, v55
	v_sub_nc_u16 v36, v19, v36
	v_lshlrev_b32_e32 v38, 2, v52
	v_sub_nc_u16 v3, v20, v3
	v_sub_nc_u16 v4, v25, v4
	v_lshlrev_b32_e32 v54, 2, v53
	v_and_b32_e32 v63, 0xffff, v36
	v_mul_lo_u16 v36, v62, 52
	v_and_b32_e32 v64, 0xffff, v3
	v_mul_lo_u16 v3, v61, 52
	v_and_b32_e32 v68, 0xffff, v4
	v_lshlrev_b32_e32 v56, 2, v55
	v_sub_nc_u16 v36, v23, v36
	v_lshlrev_b32_e32 v59, 2, v57
	v_sub_nc_u16 v3, v21, v3
	v_lshlrev_b32_e32 v60, 2, v58
	v_lshlrev_b32_e32 v61, 2, v63
	v_and_b32_e32 v67, 0xffff, v36
	v_lshlrev_b32_e32 v62, 2, v64
	v_and_b32_e32 v66, 0xffff, v3
	v_lshlrev_b32_e32 v36, 2, v68
	s_clause 0x6
	global_load_dword v65, v38, s[12:13] offset:200
	global_load_dword v54, v54, s[12:13] offset:200
	global_load_dword v56, v56, s[12:13] offset:200
	global_load_dword v59, v59, s[12:13] offset:200
	global_load_dword v60, v60, s[12:13] offset:200
	global_load_dword v61, v61, s[12:13] offset:200
	global_load_dword v62, v62, s[12:13] offset:200
	v_lshlrev_b32_e32 v3, 2, v66
	v_lshlrev_b32_e32 v4, 2, v67
	s_clause 0x2
	global_load_dword v71, v3, s[12:13] offset:200
	global_load_dword v72, v4, s[12:13] offset:200
	;; [unrolled: 1-line block ×3, first 2 shown]
	ds_read_u16 v86, v39
	ds_read_u16 v87, v40
	ds_read_u16 v88, v40 offset:1248
	ds_read_u16 v89, v40 offset:1352
	;; [unrolled: 1-line block ×7, first 2 shown]
	ds_read_u16 v95, v44
	ds_read_u16 v96, v42
	;; [unrolled: 1-line block ×8, first 2 shown]
	ds_read_u16 v103, v40 offset:1976
	ds_read_u16 v104, v40 offset:2080
	;; [unrolled: 1-line block ×4, first 2 shown]
	ds_read_u16 v107, v50
	ds_read_u16 v108, v41
	ds_read_u16 v109, v40 offset:2392
	v_mov_b32_e32 v36, v13
	v_mov_b32_e32 v38, v13
	v_lshrrev_b32_e32 v110, 21, v5
	v_lshrrev_b32_e32 v111, 21, v6
	s_waitcnt vmcnt(0) lgkmcnt(0)
	v_lshlrev_b64 v[3:4], 2, v[35:36]
	v_lshlrev_b64 v[5:6], 2, v[37:38]
	v_lshrrev_b32_e32 v35, 21, v51
	s_barrier
	buffer_gl0_inv
	v_mul_lo_u16 v110, 0x68, v110
	v_add_co_u32 v3, s0, s12, v3
	v_add_co_ci_u32_e64 v4, s0, s13, v4, s0
	v_lshl_add_u32 v52, v52, 1, 0
	v_lshl_add_u32 v53, v53, 1, 0
	;; [unrolled: 1-line block ×10, first 2 shown]
	v_add_co_u32 v5, s0, s12, v5
	v_mul_lo_u16 v111, 0x68, v111
	v_add_co_ci_u32_e64 v6, s0, s13, v6, s0
	v_lshrrev_b32_e32 v2, 21, v2
	v_mul_lo_u16 v2, 0x68, v2
	v_sub_nc_u16 v2, v19, v2
	v_mul_f16_sdwa v36, v88, v7 dst_sel:DWORD dst_unused:UNUSED_PAD src0_sel:DWORD src1_sel:WORD_1
	v_mul_f16_sdwa v37, v83, v7 dst_sel:DWORD dst_unused:UNUSED_PAD src0_sel:DWORD src1_sel:WORD_1
	;; [unrolled: 1-line block ×4, first 2 shown]
	v_fmac_f16_e32 v36, v83, v7
	v_fma_f16 v37, v88, v7, -v37
	v_fmac_f16_e32 v38, v82, v7
	v_fma_f16 v7, v89, v7, -v51
	v_sub_f16_e32 v36, v81, v36
	v_sub_f16_e32 v82, v87, v37
	;; [unrolled: 1-line block ×4, first 2 shown]
	ds_write_b16 v40, v36 offset:104
	ds_write_b16 v40, v37 offset:312
	v_fma_f16 v51, v84, 2.0, -v37
	v_fma_f16 v38, v81, 2.0, -v36
	;; [unrolled: 1-line block ×4, first 2 shown]
	ds_write_b16 v40, v38
	ds_write_b16 v40, v51 offset:208
	v_mul_f16_sdwa v37, v75, v65 dst_sel:DWORD dst_unused:UNUSED_PAD src0_sel:DWORD src1_sel:WORD_1
	v_mul_f16_sdwa v36, v90, v65 dst_sel:DWORD dst_unused:UNUSED_PAD src0_sel:DWORD src1_sel:WORD_1
	;; [unrolled: 1-line block ×20, first 2 shown]
	v_fma_f16 v37, v90, v65, -v37
	v_fmac_f16_e32 v117, v78, v62
	v_fmac_f16_e32 v119, v76, v71
	;; [unrolled: 1-line block ×6, first 2 shown]
	v_fma_f16 v38, v91, v54, -v87
	v_fmac_f16_e32 v88, v73, v56
	v_fma_f16 v51, v92, v56, -v89
	v_fmac_f16_e32 v108, v69, v59
	;; [unrolled: 2-line block ×4, first 2 shown]
	v_fma_f16 v59, v103, v61, -v116
	v_fma_f16 v60, v104, v62, -v118
	v_fma_f16 v61, v105, v71, -v120
	v_fma_f16 v62, v106, v72, -v122
	v_fma_f16 v65, v109, v85, -v124
	v_sub_f16_e32 v69, v86, v37
	v_sub_f16_e32 v74, v24, v117
	;; [unrolled: 1-line block ×20, first 2 shown]
	v_fma_f16 v78, v86, 2.0, -v69
	v_fma_f16 v24, v24, 2.0, -v74
	v_fma_f16 v22, v22, 2.0, -v75
	v_fma_f16 v11, v11, 2.0, -v76
	v_fma_f16 v10, v10, 2.0, -v77
	v_fma_f16 v9, v9, 2.0, -v36
	v_fma_f16 v8, v8, 2.0, -v37
	v_fma_f16 v79, v95, 2.0, -v70
	v_fma_f16 v33, v33, 2.0, -v38
	v_fma_f16 v80, v96, 2.0, -v71
	v_fma_f16 v31, v31, 2.0, -v51
	v_fma_f16 v84, v97, 2.0, -v54
	v_fma_f16 v29, v29, 2.0, -v72
	v_fma_f16 v85, v98, 2.0, -v56
	v_fma_f16 v27, v27, 2.0, -v73
	v_fma_f16 v86, v99, 2.0, -v59
	v_fma_f16 v87, v100, 2.0, -v60
	v_fma_f16 v88, v101, 2.0, -v61
	v_fma_f16 v89, v102, 2.0, -v62
	v_fma_f16 v90, v107, 2.0, -v65
	ds_write_b16 v52, v36 offset:520
	ds_write_b16 v53, v37 offset:728
	;; [unrolled: 1-line block ×20, first 2 shown]
	s_waitcnt lgkmcnt(0)
	s_barrier
	buffer_gl0_inv
	ds_read_u16 v38, v41
	ds_read_u16 v37, v39
	;; [unrolled: 1-line block ×9, first 2 shown]
	ds_read_u16 v73, v40 offset:936
	ds_read_u16 v74, v40 offset:1040
	;; [unrolled: 1-line block ×15, first 2 shown]
	s_waitcnt lgkmcnt(0)
	s_barrier
	buffer_gl0_inv
	ds_write_b16 v40, v81
	ds_write_b16 v40, v82 offset:104
	ds_write_b16 v40, v83 offset:208
	;; [unrolled: 1-line block ×23, first 2 shown]
	s_waitcnt lgkmcnt(0)
	s_barrier
	buffer_gl0_inv
	global_load_dwordx2 v[52:53], v[3:4], off offset:408
	v_sub_nc_u16 v3, v32, v110
	v_mul_lo_u16 v4, 0x68, v35
	global_load_dwordx2 v[54:55], v[5:6], off offset:408
	v_and_b32_e32 v67, 0xffff, v2
	v_mov_b32_e32 v27, v13
	v_and_b32_e32 v64, 0xffff, v3
	v_sub_nc_u16 v3, v18, v4
	v_mov_b32_e32 v29, v13
	v_mov_b32_e32 v31, v13
	;; [unrolled: 1-line block ×3, first 2 shown]
	v_lshlrev_b32_e32 v4, 3, v64
	v_and_b32_e32 v66, 0xffff, v3
	v_mov_b32_e32 v35, v13
	v_lshlrev_b64 v[8:9], 2, v[30:31]
	v_lshl_add_u32 v31, v67, 1, 0
	global_load_dwordx2 v[56:57], v4, s[12:13] offset:408
	v_sub_nc_u16 v5, v34, v111
	v_lshlrev_b32_e32 v2, 3, v66
	v_lshlrev_b64 v[6:7], 2, v[28:29]
	v_lshlrev_b64 v[28:29], 2, v[34:35]
	v_lshl_add_u32 v30, v66, 1, 0
	v_and_b32_e32 v65, 0xffff, v5
	v_lshlrev_b32_e32 v3, 3, v65
	global_load_dwordx2 v[58:59], v3, s[12:13] offset:408
	v_lshlrev_b32_e32 v3, 3, v67
	s_clause 0x1
	global_load_dwordx2 v[60:61], v2, s[12:13] offset:408
	global_load_dwordx2 v[62:63], v3, s[12:13] offset:408
	v_lshlrev_b64 v[2:3], 2, v[26:27]
	v_lshlrev_b64 v[26:27], 2, v[32:33]
	v_add_co_u32 v4, s0, s12, v2
	v_add_co_ci_u32_e64 v5, s0, s13, v3, s0
	v_add_co_u32 v6, s0, s12, v6
	v_add_co_ci_u32_e64 v7, s0, s13, v7, s0
	v_add_co_u32 v8, s0, s12, v8
	v_add_co_ci_u32_e64 v9, s0, s13, v9, s0
	v_add_co_u32 v2, s0, s12, v26
	v_add_co_ci_u32_e64 v3, s0, s13, v27, s0
	v_lshl_add_u32 v26, v64, 1, 0
	v_lshl_add_u32 v27, v65, 1, 0
	ds_read_u16 v32, v47
	ds_read_u16 v33, v40
	ds_read_u16 v34, v40 offset:936
	ds_read_u16 v35, v40 offset:1664
	;; [unrolled: 1-line block ×4, first 2 shown]
	ds_read_u16 v66, v41
	ds_read_u16 v67, v39
	;; [unrolled: 1-line block ×7, first 2 shown]
	ds_read_u16 v79, v40 offset:1040
	ds_read_u16 v80, v40 offset:1144
	;; [unrolled: 1-line block ×11, first 2 shown]
	s_waitcnt vmcnt(0) lgkmcnt(0)
	s_barrier
	buffer_gl0_inv
	v_mul_f16_sdwa v90, v32, v52 dst_sel:DWORD dst_unused:UNUSED_PAD src0_sel:DWORD src1_sel:WORD_1
	v_mul_f16_sdwa v102, v35, v53 dst_sel:DWORD dst_unused:UNUSED_PAD src0_sel:DWORD src1_sel:WORD_1
	;; [unrolled: 1-line block ×12, first 2 shown]
	v_fmac_f16_e32 v90, v72, v52
	v_fmac_f16_e32 v102, v93, v53
	v_mul_f16_sdwa v105, v73, v54 dst_sel:DWORD dst_unused:UNUSED_PAD src0_sel:DWORD src1_sel:WORD_1
	v_mul_f16_sdwa v107, v94, v55 dst_sel:DWORD dst_unused:UNUSED_PAD src0_sel:DWORD src1_sel:WORD_1
	;; [unrolled: 1-line block ×8, first 2 shown]
	v_fma_f16 v32, v32, v52, -v101
	v_fma_f16 v35, v35, v53, -v103
	v_fmac_f16_e32 v104, v73, v54
	v_fmac_f16_e32 v106, v94, v55
	;; [unrolled: 1-line block ×3, first 2 shown]
	v_fma_f16 v52, v79, v52, -v109
	v_fmac_f16_e32 v110, v95, v53
	v_fma_f16 v53, v65, v53, -v111
	v_fmac_f16_e32 v112, v75, v54
	v_fmac_f16_e32 v114, v96, v55
	v_mul_f16_sdwa v120, v82, v58 dst_sel:DWORD dst_unused:UNUSED_PAD src0_sel:DWORD src1_sel:WORD_1
	v_mul_f16_sdwa v122, v87, v59 dst_sel:DWORD dst_unused:UNUSED_PAD src0_sel:DWORD src1_sel:WORD_1
	v_mul_f16_sdwa v121, v77, v58 dst_sel:DWORD dst_unused:UNUSED_PAD src0_sel:DWORD src1_sel:WORD_1
	v_mul_f16_sdwa v123, v98, v59 dst_sel:DWORD dst_unused:UNUSED_PAD src0_sel:DWORD src1_sel:WORD_1
	v_mul_f16_sdwa v124, v83, v60 dst_sel:DWORD dst_unused:UNUSED_PAD src0_sel:DWORD src1_sel:WORD_1
	v_mul_f16_sdwa v128, v84, v62 dst_sel:DWORD dst_unused:UNUSED_PAD src0_sel:DWORD src1_sel:WORD_1
	v_mul_f16_sdwa v130, v89, v63 dst_sel:DWORD dst_unused:UNUSED_PAD src0_sel:DWORD src1_sel:WORD_1
	v_mul_f16_sdwa v126, v88, v61 dst_sel:DWORD dst_unused:UNUSED_PAD src0_sel:DWORD src1_sel:WORD_1
	v_mul_f16_sdwa v129, v92, v62 dst_sel:DWORD dst_unused:UNUSED_PAD src0_sel:DWORD src1_sel:WORD_1
	v_mul_f16_sdwa v131, v100, v63 dst_sel:DWORD dst_unused:UNUSED_PAD src0_sel:DWORD src1_sel:WORD_1
	v_mul_f16_sdwa v125, v91, v60 dst_sel:DWORD dst_unused:UNUSED_PAD src0_sel:DWORD src1_sel:WORD_1
	v_mul_f16_sdwa v127, v99, v61 dst_sel:DWORD dst_unused:UNUSED_PAD src0_sel:DWORD src1_sel:WORD_1
	v_fmac_f16_e32 v128, v92, v62
	v_fmac_f16_e32 v130, v100, v63
	v_fmac_f16_e32 v116, v76, v56
	v_fmac_f16_e32 v118, v97, v57
	v_fmac_f16_e32 v120, v77, v58
	v_fmac_f16_e32 v122, v98, v59
	v_fmac_f16_e32 v124, v91, v60
	v_fmac_f16_e32 v126, v99, v61
	v_fma_f16 v62, v84, v62, -v129
	v_fma_f16 v63, v89, v63, -v131
	v_add_f16_e32 v72, v90, v102
	v_fma_f16 v34, v34, v54, -v105
	v_fma_f16 v64, v64, v55, -v107
	;; [unrolled: 1-line block ×10, first 2 shown]
	v_add_f16_e32 v77, v104, v106
	v_sub_f16_e32 v84, v52, v53
	v_add_f16_e32 v85, v67, v52
	v_add_f16_e32 v52, v52, v53
	;; [unrolled: 1-line block ×4, first 2 shown]
	v_sub_f16_e32 v73, v32, v35
	v_add_f16_e32 v74, v33, v32
	v_add_f16_e32 v32, v32, v35
	;; [unrolled: 1-line block ×3, first 2 shown]
	v_sub_f16_e32 v81, v104, v106
	v_add_f16_e32 v83, v108, v110
	v_add_f16_e32 v88, v112, v114
	;; [unrolled: 1-line block ×6, first 2 shown]
	v_sub_f16_e32 v91, v112, v114
	v_sub_f16_e32 v112, v62, v63
	v_add_f16_e32 v113, v78, v62
	v_add_f16_e32 v62, v62, v63
	v_fmac_f16_e32 v51, -0.5, v72
	v_sub_f16_e32 v79, v34, v64
	v_add_f16_e32 v80, v66, v34
	v_add_f16_e32 v34, v34, v64
	v_sub_f16_e32 v75, v90, v102
	v_sub_f16_e32 v86, v108, v110
	;; [unrolled: 1-line block ×3, first 2 shown]
	v_add_f16_e32 v90, v68, v54
	v_add_f16_e32 v54, v54, v55
	v_sub_f16_e32 v94, v56, v57
	v_add_f16_e32 v95, v69, v56
	v_add_f16_e32 v56, v56, v57
	v_sub_f16_e32 v99, v58, v59
	;; [unrolled: 3-line block ×3, first 2 shown]
	v_add_f16_e32 v107, v71, v60
	v_add_f16_e32 v60, v60, v61
	;; [unrolled: 1-line block ×3, first 2 shown]
	v_fmac_f16_e32 v38, -0.5, v77
	v_fmac_f16_e32 v67, -0.5, v52
	;; [unrolled: 1-line block ×3, first 2 shown]
	v_add_f16_e32 v82, v37, v108
	v_add_f16_e32 v92, v24, v116
	;; [unrolled: 1-line block ×5, first 2 shown]
	v_fmac_f16_e32 v33, -0.5, v32
	v_fmac_f16_e32 v37, -0.5, v83
	;; [unrolled: 1-line block ×7, first 2 shown]
	v_fmamk_f16 v62, v73, 0xbaee, v51
	v_fmac_f16_e32 v51, 0x3aee, v73
	v_add_f16_e32 v32, v76, v106
	v_fmac_f16_e32 v66, -0.5, v34
	v_sub_f16_e32 v96, v116, v118
	v_sub_f16_e32 v101, v120, v122
	;; [unrolled: 1-line block ×4, first 2 shown]
	v_add_f16_e32 v35, v74, v35
	v_fmac_f16_e32 v68, -0.5, v54
	v_fmac_f16_e32 v69, -0.5, v56
	;; [unrolled: 1-line block ×4, first 2 shown]
	v_fmamk_f16 v73, v79, 0xbaee, v38
	v_fmamk_f16 v76, v86, 0x3aee, v67
	v_fmac_f16_e32 v67, 0xbaee, v86
	v_fmamk_f16 v86, v112, 0xbaee, v10
	v_fmac_f16_e32 v10, 0x3aee, v112
	v_add_f16_e32 v64, v80, v64
	v_add_f16_e32 v34, v82, v110
	;; [unrolled: 1-line block ×7, first 2 shown]
	v_fmamk_f16 v72, v75, 0x3aee, v33
	v_fmac_f16_e32 v33, 0xbaee, v75
	v_fmac_f16_e32 v38, 0x3aee, v79
	v_fmamk_f16 v75, v84, 0xbaee, v37
	v_fmac_f16_e32 v37, 0x3aee, v84
	v_fmamk_f16 v77, v89, 0xbaee, v36
	;; [unrolled: 2-line block ×5, first 2 shown]
	v_fmac_f16_e32 v11, 0x3aee, v105
	ds_write_b16 v40, v65
	ds_write_b16 v40, v62 offset:208
	ds_write_b16 v40, v51 offset:416
	ds_write_b16 v41, v32
	ds_write_b16 v41, v73 offset:208
	ds_write_b16 v41, v38 offset:416
	;; [unrolled: 1-line block ×20, first 2 shown]
	v_add_co_u32 v10, s0, s12, v28
	v_add_co_ci_u32_e64 v11, s0, s13, v29, s0
	v_fmamk_f16 v74, v81, 0x3aee, v66
	v_add_f16_e32 v53, v85, v53
	v_add_f16_e32 v55, v90, v55
	;; [unrolled: 1-line block ×6, first 2 shown]
	v_fmac_f16_e32 v66, 0xbaee, v81
	v_fmamk_f16 v79, v91, 0x3aee, v68
	v_fmac_f16_e32 v68, 0xbaee, v91
	v_fmamk_f16 v81, v96, 0x3aee, v69
	;; [unrolled: 2-line block ×5, first 2 shown]
	v_fmac_f16_e32 v78, 0xbaee, v115
	s_waitcnt lgkmcnt(0)
	s_barrier
	buffer_gl0_inv
	ds_read_u16 v22, v39
	ds_read_u16 v24, v44
	;; [unrolled: 1-line block ×3, first 2 shown]
	ds_read_u16 v34, v40 offset:1248
	ds_read_u16 v36, v40 offset:1352
	;; [unrolled: 1-line block ×11, first 2 shown]
	ds_read_u16 v65, v42
	ds_read_u16 v73, v43
	;; [unrolled: 1-line block ×9, first 2 shown]
	ds_read_u16 v89, v40 offset:2392
	s_waitcnt lgkmcnt(0)
	s_barrier
	buffer_gl0_inv
	ds_write_b16 v40, v35
	ds_write_b16 v40, v72 offset:208
	ds_write_b16 v40, v33 offset:416
	ds_write_b16 v41, v64
	ds_write_b16 v41, v74 offset:208
	ds_write_b16 v41, v66 offset:416
	;; [unrolled: 1-line block ×20, first 2 shown]
	s_waitcnt lgkmcnt(0)
	s_barrier
	buffer_gl0_inv
	s_clause 0x5
	global_load_dword v26, v[0:1], off offset:1240
	global_load_dword v27, v[4:5], off offset:1240
	;; [unrolled: 1-line block ×6, first 2 shown]
	ds_read_u16 v33, v39
	ds_read_u16 v35, v40
	ds_read_u16 v53, v40 offset:1248
	ds_read_u16 v55, v40 offset:1352
	;; [unrolled: 1-line block ×7, first 2 shown]
	ds_read_u16 v66, v44
	ds_read_u16 v67, v42
	;; [unrolled: 1-line block ×8, first 2 shown]
	ds_read_u16 v76, v40 offset:1976
	ds_read_u16 v78, v40 offset:2080
	;; [unrolled: 1-line block ×4, first 2 shown]
	ds_read_u16 v83, v50
	ds_read_u16 v85, v41
	ds_read_u16 v87, v40 offset:2392
	s_waitcnt vmcnt(0) lgkmcnt(0)
	s_barrier
	buffer_gl0_inv
	v_mul_f16_sdwa v90, v53, v26 dst_sel:DWORD dst_unused:UNUSED_PAD src0_sel:DWORD src1_sel:WORD_1
	v_mul_f16_sdwa v91, v34, v26 dst_sel:DWORD dst_unused:UNUSED_PAD src0_sel:DWORD src1_sel:WORD_1
	;; [unrolled: 1-line block ×23, first 2 shown]
	v_fmac_f16_e32 v90, v34, v26
	v_fma_f16 v34, v53, v26, -v91
	v_fmac_f16_e32 v92, v36, v27
	v_mul_f16_sdwa v103, v54, v26 dst_sel:DWORD dst_unused:UNUSED_PAD src0_sel:DWORD src1_sel:WORD_1
	v_fma_f16 v36, v55, v27, -v93
	v_fmac_f16_e32 v94, v37, v30
	v_fma_f16 v37, v57, v30, -v95
	v_fmac_f16_e32 v96, v38, v28
	;; [unrolled: 2-line block ×5, first 2 shown]
	v_fmac_f16_e32 v104, v56, v27
	v_fma_f16 v27, v76, v27, -v105
	v_fmac_f16_e32 v106, v58, v30
	v_fma_f16 v30, v78, v30, -v107
	;; [unrolled: 2-line block ×5, first 2 shown]
	v_sub_f16_e32 v53, v32, v90
	v_sub_f16_e32 v63, v35, v34
	;; [unrolled: 1-line block ×3, first 2 shown]
	v_fma_f16 v26, v64, v26, -v103
	v_sub_f16_e32 v64, v85, v36
	v_sub_f16_e32 v36, v22, v94
	;; [unrolled: 1-line block ×20, first 2 shown]
	v_fma_f16 v31, v32, 2.0, -v53
	v_fma_f16 v32, v88, 2.0, -v34
	;; [unrolled: 1-line block ×14, first 2 shown]
	ds_write_b16 v40, v53 offset:624
	ds_write_b16 v40, v31
	ds_write_b16 v41, v32
	ds_write_b16 v41, v34 offset:624
	ds_write_b16 v39, v22
	ds_write_b16 v39, v36 offset:624
	;; [unrolled: 2-line block ×5, first 2 shown]
	ds_write_b16 v40, v55 offset:1248
	ds_write_b16 v40, v52 offset:1872
	;; [unrolled: 1-line block ×12, first 2 shown]
	s_waitcnt lgkmcnt(0)
	s_barrier
	buffer_gl0_inv
	ds_read_u16 v55, v39
	ds_read_u16 v57, v44
	ds_read_u16 v54, v40
	ds_read_u16 v58, v40 offset:1248
	ds_read_u16 v59, v40 offset:1352
	;; [unrolled: 1-line block ×11, first 2 shown]
	ds_read_u16 v27, v42
	ds_read_u16 v28, v43
	;; [unrolled: 1-line block ×9, first 2 shown]
	ds_read_u16 v56, v40 offset:2392
	v_sub_f16_e32 v26, v69, v26
	v_fma_f16 v85, v85, 2.0, -v64
	v_fma_f16 v66, v66, 2.0, -v78
	;; [unrolled: 1-line block ×10, first 2 shown]
	s_waitcnt lgkmcnt(0)
	s_barrier
	buffer_gl0_inv
	ds_write_b16 v40, v93
	ds_write_b16 v40, v63 offset:624
	ds_write_b16 v41, v85
	ds_write_b16 v41, v64 offset:624
	;; [unrolled: 2-line block ×6, first 2 shown]
	ds_write_b16 v40, v68 offset:1248
	ds_write_b16 v40, v26 offset:1872
	;; [unrolled: 1-line block ×12, first 2 shown]
	s_waitcnt lgkmcnt(0)
	s_barrier
	buffer_gl0_inv
	s_and_saveexec_b32 s0, vcc_lo
	s_cbranch_execz .LBB0_23
; %bb.22:
	v_mov_b32_e32 v26, v13
	v_mov_b32_e32 v24, v13
	;; [unrolled: 1-line block ×3, first 2 shown]
	v_add_nc_u32_e32 v87, 0x104, v12
	v_lshlrev_b64 v[25:26], 2, v[25:26]
	v_lshlrev_b64 v[23:24], 2, v[23:24]
	;; [unrolled: 1-line block ×3, first 2 shown]
	v_add_co_u32 v25, vcc_lo, s12, v25
	v_add_co_ci_u32_e32 v26, vcc_lo, s13, v26, vcc_lo
	v_add_co_u32 v63, vcc_lo, s12, v23
	v_add_co_ci_u32_e32 v64, vcc_lo, s13, v24, vcc_lo
	;; [unrolled: 2-line block ×5, first 2 shown]
	v_mov_b32_e32 v21, v13
	v_add_co_u32 v63, vcc_lo, 0x800, v63
	v_add_co_ci_u32_e32 v64, vcc_lo, 0, v22, vcc_lo
	v_add_co_u32 v8, vcc_lo, 0x800, v8
	v_add_co_ci_u32_e32 v9, vcc_lo, 0, v9, vcc_lo
	;; [unrolled: 2-line block ×5, first 2 shown]
	s_clause 0x3
	global_load_dword v65, v[8:9], off offset:440
	global_load_dword v66, v[6:7], off offset:440
	;; [unrolled: 1-line block ×4, first 2 shown]
	v_lshlrev_b64 v[21:22], 2, v[20:21]
	v_mov_b32_e32 v20, v13
	v_add_nc_u32_e32 v8, 0xd0, v12
	v_add_co_u32 v4, vcc_lo, s12, v21
	v_add_co_ci_u32_e32 v5, vcc_lo, s13, v22, vcc_lo
	v_lshlrev_b64 v[0:1], 2, v[19:20]
	v_add_co_u32 v4, vcc_lo, 0x800, v4
	v_mov_b32_e32 v19, v13
	v_add_co_ci_u32_e32 v5, vcc_lo, 0, v5, vcc_lo
	v_add_co_u32 v6, vcc_lo, s12, v0
	v_add_co_ci_u32_e32 v7, vcc_lo, s13, v1, vcc_lo
	v_lshlrev_b64 v[0:1], 2, v[18:19]
	v_add_co_u32 v6, vcc_lo, 0x800, v6
	v_add_co_ci_u32_e32 v7, vcc_lo, 0, v7, vcc_lo
	s_clause 0x4
	global_load_dword v69, v[23:24], off offset:440
	global_load_dword v70, v[25:26], off offset:440
	global_load_dword v63, v[63:64], off offset:440
	global_load_dword v64, v[4:5], off offset:440
	global_load_dword v71, v[6:7], off offset:440
	v_add_co_u32 v0, vcc_lo, s12, v0
	v_add_co_ci_u32_e32 v1, vcc_lo, s13, v1, vcc_lo
	v_add_nc_u32_e32 v6, 0x68, v12
	v_add_co_u32 v0, vcc_lo, 0x800, v0
	v_add_co_ci_u32_e32 v1, vcc_lo, 0, v1, vcc_lo
	v_add_co_u32 v4, vcc_lo, 0x800, v10
	v_add_co_ci_u32_e32 v5, vcc_lo, 0, v11, vcc_lo
	;; [unrolled: 2-line block ×3, first 2 shown]
	s_clause 0x2
	global_load_dword v72, v[0:1], off offset:440
	global_load_dword v73, v[4:5], off offset:440
	;; [unrolled: 1-line block ×3, first 2 shown]
	v_lshrrev_b32_e32 v4, 4, v12
	v_add_nc_u32_e32 v5, 52, v12
	v_add_nc_u32_e32 v7, 0x9c, v12
	v_lshrrev_b32_e32 v10, 4, v6
	v_mul_lo_u32 v2, s5, v16
	v_mul_hi_u32 v4, 0x1a41a41b, v4
	v_lshrrev_b32_e32 v9, 4, v5
	v_mul_lo_u32 v3, s4, v17
	v_mad_u64_u32 v[0:1], null, s4, v16, 0
	v_lshrrev_b32_e32 v11, 4, v7
	v_mul_hi_u32 v9, 0x1a41a41b, v9
	v_lshrrev_b32_e32 v13, 4, v8
	v_mul_hi_u32 v10, 0x1a41a41b, v10
	;; [unrolled: 2-line block ×3, first 2 shown]
	v_add3_u32 v1, v1, v3, v2
	v_mul_hi_u32 v13, 0x1a41a41b, v13
	v_lshlrev_b64 v[2:3], 2, v[14:15]
	v_mul_u32_u24_e32 v4, 0x270, v4
	v_lshrrev_b32_e32 v9, 2, v9
	v_lshrrev_b32_e32 v10, 2, v10
	v_lshlrev_b64 v[0:1], 2, v[0:1]
	v_lshrrev_b32_e32 v11, 2, v11
	v_sub_nc_u32_e32 v14, v12, v4
	v_mul_u32_u24_e32 v4, 0x270, v9
	v_lshrrev_b32_e32 v13, 2, v13
	v_mul_u32_u24_e32 v15, 0x270, v10
	v_add_co_u32 v0, vcc_lo, s10, v0
	v_mul_u32_u24_e32 v16, 0x270, v11
	v_sub_nc_u32_e32 v18, v5, v4
	v_mul_u32_u24_e32 v17, 0x270, v13
	v_sub_nc_u32_e32 v6, v6, v15
	v_add_co_ci_u32_e32 v1, vcc_lo, s11, v1, vcc_lo
	v_add_nc_u32_e32 v20, 0x270, v14
	v_add_co_u32 v0, vcc_lo, v0, v2
	v_sub_nc_u32_e32 v7, v7, v16
	v_mad_u32_u24 v22, 0x4e0, v9, v18
	v_sub_nc_u32_e32 v8, v8, v17
	v_mad_u32_u24 v23, 0x4e0, v10, v6
	v_add_co_ci_u32_e32 v1, vcc_lo, v1, v3, vcc_lo
	v_mad_u64_u32 v[2:3], null, s2, v14, 0
	v_mad_u64_u32 v[4:5], null, s2, v20, 0
	v_mad_u32_u24 v24, 0x4e0, v11, v7
	v_mad_u64_u32 v[6:7], null, s2, v22, 0
	v_mad_u32_u24 v88, 0x4e0, v13, v8
	v_add_nc_u32_e32 v25, 0x270, v22
	v_mad_u64_u32 v[8:9], null, s2, v23, 0
	v_add_nc_u32_e32 v26, 0x270, v23
	v_mad_u64_u32 v[10:11], null, s2, v24, 0
	v_mad_u64_u32 v[13:14], null, s3, v14, v[3:4]
	v_add_nc_u32_e32 v89, 0x270, v24
	v_mov_b32_e32 v3, v5
	v_mad_u64_u32 v[14:15], null, s2, v25, 0
	v_mad_u64_u32 v[16:17], null, s2, v26, 0
	v_mov_b32_e32 v5, v7
	v_mov_b32_e32 v7, v9
	ds_read_u16 v44, v44
	ds_read_u16 v39, v39
	ds_read_u16 v41, v41
	ds_read_u16 v75, v40 offset:2392
	ds_read_u16 v76, v40 offset:2288
	;; [unrolled: 1-line block ×5, first 2 shown]
	ds_read_u16 v50, v50
	ds_read_u16 v49, v49
	;; [unrolled: 1-line block ×8, first 2 shown]
	ds_read_u16 v80, v40 offset:1872
	ds_read_u16 v81, v40 offset:1768
	;; [unrolled: 1-line block ×7, first 2 shown]
	ds_read_u16 v40, v40
	v_mad_u64_u32 v[18:19], null, s2, v89, 0
	v_mad_u64_u32 v[20:21], null, s3, v20, v[3:4]
	v_mov_b32_e32 v9, v11
	v_mad_u64_u32 v[21:22], null, s3, v22, v[5:6]
	v_mov_b32_e32 v11, v15
	;; [unrolled: 2-line block ×4, first 2 shown]
	v_mov_b32_e32 v5, v20
	v_mad_u64_u32 v[19:20], null, s3, v25, v[11:12]
	v_mad_u64_u32 v[24:25], null, s3, v26, v[7:8]
	v_mov_b32_e32 v3, v13
	v_mad_u64_u32 v[25:26], null, s3, v89, v[9:10]
	v_mov_b32_e32 v7, v21
	v_mov_b32_e32 v15, v19
	;; [unrolled: 1-line block ×5, first 2 shown]
	v_lshlrev_b64 v[2:3], 2, v[2:3]
	v_lshlrev_b64 v[13:14], 2, v[14:15]
	v_lshlrev_b64 v[4:5], 2, v[4:5]
	v_lshlrev_b64 v[15:16], 2, v[16:17]
	v_lshlrev_b64 v[6:7], 2, v[6:7]
	v_lshlrev_b64 v[8:9], 2, v[8:9]
	v_add_co_u32 v2, vcc_lo, v0, v2
	v_add_co_ci_u32_e32 v3, vcc_lo, v1, v3, vcc_lo
	v_add_co_u32 v4, vcc_lo, v0, v4
	v_add_co_ci_u32_e32 v5, vcc_lo, v1, v5, vcc_lo
	v_add_co_u32 v6, vcc_lo, v0, v6
	v_add_co_ci_u32_e32 v7, vcc_lo, v1, v7, vcc_lo
	v_add_co_u32 v8, vcc_lo, v0, v8
	v_add_co_ci_u32_e32 v9, vcc_lo, v1, v9, vcc_lo
	v_add_co_u32 v13, vcc_lo, v0, v13
	v_add_co_ci_u32_e32 v14, vcc_lo, v1, v14, vcc_lo
	v_add_co_u32 v15, vcc_lo, v0, v15
	v_add_co_ci_u32_e32 v16, vcc_lo, v1, v16, vcc_lo
	s_waitcnt vmcnt(10) lgkmcnt(3)
	v_mul_f16_sdwa v20, v66, v84 dst_sel:DWORD dst_unused:UNUSED_PAD src0_sel:WORD_1 src1_sel:DWORD
	v_mul_f16_sdwa v19, v61, v65 dst_sel:DWORD dst_unused:UNUSED_PAD src0_sel:DWORD src1_sel:WORD_1
	v_mul_f16_sdwa v21, v60, v66 dst_sel:DWORD dst_unused:UNUSED_PAD src0_sel:DWORD src1_sel:WORD_1
	s_waitcnt vmcnt(9) lgkmcnt(2)
	v_mul_f16_sdwa v22, v67, v85 dst_sel:DWORD dst_unused:UNUSED_PAD src0_sel:WORD_1 src1_sel:DWORD
	v_mul_f16_sdwa v23, v59, v67 dst_sel:DWORD dst_unused:UNUSED_PAD src0_sel:DWORD src1_sel:WORD_1
	s_waitcnt vmcnt(8) lgkmcnt(1)
	v_mul_f16_sdwa v24, v68, v86 dst_sel:DWORD dst_unused:UNUSED_PAD src0_sel:WORD_1 src1_sel:DWORD
	v_mul_f16_sdwa v26, v58, v68 dst_sel:DWORD dst_unused:UNUSED_PAD src0_sel:DWORD src1_sel:WORD_1
	v_mul_f16_sdwa v17, v65, v83 dst_sel:DWORD dst_unused:UNUSED_PAD src0_sel:WORD_1 src1_sel:DWORD
	v_fma_f16 v19, v65, v83, -v19
	v_fmac_f16_e32 v20, v60, v66
	v_fma_f16 v21, v66, v84, -v21
	v_fmac_f16_e32 v22, v59, v67
	;; [unrolled: 2-line block ×4, first 2 shown]
	v_sub_f16_e32 v58, v44, v19
	v_sub_f16_e32 v19, v55, v20
	;; [unrolled: 1-line block ×6, first 2 shown]
	s_waitcnt lgkmcnt(0)
	v_sub_f16_e32 v24, v40, v26
	v_sub_f16_e32 v17, v57, v17
	v_fma_f16 v55, v55, 2.0, -v19
	v_fma_f16 v41, v41, 2.0, -v22
	v_fma_f16 v54, v54, 2.0, -v23
	v_fma_f16 v40, v40, 2.0, -v24
	v_fma_f16 v26, v57, 2.0, -v17
	v_fma_f16 v57, v62, 2.0, -v21
	v_fma_f16 v39, v39, 2.0, -v20
	v_pack_b32_f16 v23, v23, v24
	v_pack_b32_f16 v40, v54, v40
	;; [unrolled: 1-line block ×5, first 2 shown]
	global_store_dword v[2:3], v40, off
	global_store_dword v[4:5], v23, off
	;; [unrolled: 1-line block ×5, first 2 shown]
	v_lshrrev_b32_e32 v6, 4, v87
	v_add_nc_u32_e32 v13, 0x270, v88
	v_pack_b32_f16 v19, v19, v20
	v_mad_u64_u32 v[4:5], null, s2, v88, 0
	v_mul_hi_u32 v8, 0x1a41a41b, v6
	v_mad_u64_u32 v[6:7], null, s2, v13, 0
	global_store_dword v[15:16], v19, off
	v_mov_b32_e32 v19, v25
	v_lshlrev_b64 v[2:3], 2, v[10:11]
	v_fma_f16 v44, v44, 2.0, -v58
	s_waitcnt vmcnt(0)
	v_mul_f16_sdwa v86, v74, v82 dst_sel:DWORD dst_unused:UNUSED_PAD src0_sel:WORD_1 src1_sel:DWORD
	v_lshrrev_b32_e32 v16, 2, v8
	v_lshlrev_b64 v[8:9], 2, v[18:19]
	v_mad_u64_u32 v[10:11], null, s3, v88, v[5:6]
	v_mov_b32_e32 v5, v7
	v_add_co_u32 v2, vcc_lo, v0, v2
	v_mul_u32_u24_e32 v11, 0x270, v16
	v_add_co_ci_u32_e32 v3, vcc_lo, v1, v3, vcc_lo
	v_add_co_u32 v7, vcc_lo, v0, v8
	v_mad_u64_u32 v[13:14], null, s3, v13, v[5:6]
	v_pack_b32_f16 v15, v26, v44
	v_add_co_ci_u32_e32 v8, vcc_lo, v1, v9, vcc_lo
	v_pack_b32_f16 v9, v17, v58
	v_sub_nc_u32_e32 v11, v87, v11
	v_add_nc_u32_e32 v14, 0x138, v12
	v_mov_b32_e32 v5, v10
	global_store_dword v[2:3], v15, off
	global_store_dword v[7:8], v9, off
	v_mad_u32_u24 v10, 0x4e0, v16, v11
	v_lshrrev_b32_e32 v8, 4, v14
	v_mov_b32_e32 v7, v13
	v_mul_f16_sdwa v89, v35, v74 dst_sel:DWORD dst_unused:UNUSED_PAD src0_sel:DWORD src1_sel:WORD_1
	v_lshlrev_b64 v[2:3], 2, v[4:5]
	v_add_nc_u32_e32 v13, 0x270, v10
	v_mul_hi_u32 v11, 0x1a41a41b, v8
	v_mad_u64_u32 v[4:5], null, s2, v10, 0
	v_lshlrev_b64 v[6:7], 2, v[6:7]
	v_mad_u64_u32 v[8:9], null, s2, v13, 0
	v_fmac_f16_e32 v86, v35, v74
	v_fma_f16 v35, v74, v82, -v89
	v_lshrrev_b32_e32 v16, 2, v11
	v_add_co_u32 v2, vcc_lo, v0, v2
	v_sub_f16_e32 v54, v27, v86
	v_sub_f16_e32 v35, v42, v35
	v_mad_u64_u32 v[10:11], null, s3, v10, v[5:6]
	v_mov_b32_e32 v5, v9
	v_mul_u32_u24_e32 v9, 0x270, v16
	v_add_co_ci_u32_e32 v3, vcc_lo, v1, v3, vcc_lo
	v_add_co_u32 v6, vcc_lo, v0, v6
	v_fma_f16 v27, v27, 2.0, -v54
	v_fma_f16 v42, v42, 2.0, -v35
	v_sub_nc_u32_e32 v9, v14, v9
	v_mad_u64_u32 v[13:14], null, s3, v13, v[5:6]
	v_add_co_ci_u32_e32 v7, vcc_lo, v1, v7, vcc_lo
	v_pack_b32_f16 v15, v27, v42
	v_pack_b32_f16 v11, v54, v35
	v_mov_b32_e32 v5, v10
	v_add_nc_u32_e32 v17, 0x16c, v12
	v_mad_u32_u24 v10, 0x4e0, v16, v9
	v_mul_f16_sdwa v24, v70, v76 dst_sel:DWORD dst_unused:UNUSED_PAD src0_sel:WORD_1 src1_sel:DWORD
	v_mul_f16_sdwa v59, v53, v70 dst_sel:DWORD dst_unused:UNUSED_PAD src0_sel:DWORD src1_sel:WORD_1
	v_mul_f16_sdwa v84, v73, v81 dst_sel:DWORD dst_unused:UNUSED_PAD src0_sel:WORD_1 src1_sel:DWORD
	v_mul_f16_sdwa v85, v36, v73 dst_sel:DWORD dst_unused:UNUSED_PAD src0_sel:DWORD src1_sel:WORD_1
	global_store_dword v[2:3], v15, off
	global_store_dword v[6:7], v11, off
	v_lshrrev_b32_e32 v6, 4, v17
	v_mov_b32_e32 v9, v13
	v_add_nc_u32_e32 v13, 0x270, v10
	v_fmac_f16_e32 v24, v53, v70
	v_fma_f16 v53, v70, v76, -v59
	v_fmac_f16_e32 v84, v36, v73
	v_fma_f16 v36, v73, v81, -v85
	v_lshlrev_b64 v[2:3], 2, v[4:5]
	v_mad_u64_u32 v[4:5], null, s2, v10, 0
	v_mul_hi_u32 v11, 0x1a41a41b, v6
	v_mad_u64_u32 v[6:7], null, s2, v13, 0
	v_sub_f16_e32 v23, v49, v53
	v_sub_f16_e32 v53, v28, v84
	;; [unrolled: 1-line block ×3, first 2 shown]
	v_lshlrev_b64 v[8:9], 2, v[8:9]
	v_add_co_u32 v2, vcc_lo, v0, v2
	v_lshrrev_b32_e32 v16, 2, v11
	v_mad_u64_u32 v[10:11], null, s3, v10, v[5:6]
	v_mov_b32_e32 v5, v7
	v_fma_f16 v28, v28, 2.0, -v53
	v_fma_f16 v43, v43, 2.0, -v36
	v_add_co_ci_u32_e32 v3, vcc_lo, v1, v3, vcc_lo
	v_mul_u32_u24_e32 v11, 0x270, v16
	v_add_co_u32 v7, vcc_lo, v0, v8
	v_mad_u64_u32 v[13:14], null, s3, v13, v[5:6]
	v_pack_b32_f16 v15, v28, v43
	v_add_nc_u32_e32 v14, 0x1a0, v12
	v_add_co_ci_u32_e32 v8, vcc_lo, v1, v9, vcc_lo
	v_pack_b32_f16 v9, v53, v36
	v_sub_nc_u32_e32 v11, v17, v11
	global_store_dword v[2:3], v15, off
	global_store_dword v[7:8], v9, off
	v_lshrrev_b32_e32 v8, 4, v14
	v_mul_f16_sdwa v60, v63, v77 dst_sel:DWORD dst_unused:UNUSED_PAD src0_sel:WORD_1 src1_sel:DWORD
	v_mul_f16_sdwa v61, v52, v63 dst_sel:DWORD dst_unused:UNUSED_PAD src0_sel:DWORD src1_sel:WORD_1
	v_mul_f16_sdwa v68, v72, v80 dst_sel:DWORD dst_unused:UNUSED_PAD src0_sel:WORD_1 src1_sel:DWORD
	v_mul_f16_sdwa v83, v37, v72 dst_sel:DWORD dst_unused:UNUSED_PAD src0_sel:DWORD src1_sel:WORD_1
	v_mov_b32_e32 v5, v10
	v_mad_u32_u24 v10, 0x4e0, v16, v11
	v_mul_hi_u32 v8, 0x1a41a41b, v8
	v_mov_b32_e32 v7, v13
	v_fmac_f16_e32 v60, v52, v63
	v_fma_f16 v52, v63, v77, -v61
	v_fmac_f16_e32 v68, v37, v72
	v_fma_f16 v37, v72, v80, -v83
	v_lshlrev_b64 v[2:3], 2, v[4:5]
	v_mad_u64_u32 v[4:5], null, s2, v10, 0
	v_lshlrev_b64 v[6:7], 2, v[6:7]
	v_sub_f16_e32 v39, v48, v52
	v_sub_f16_e32 v52, v29, v68
	;; [unrolled: 1-line block ×3, first 2 shown]
	v_lshrrev_b32_e32 v16, 2, v8
	v_add_nc_u32_e32 v15, 0x270, v10
	v_mad_u64_u32 v[10:11], null, s3, v10, v[5:6]
	v_fma_f16 v29, v29, 2.0, -v52
	v_fma_f16 v45, v45, 2.0, -v37
	v_add_co_u32 v2, vcc_lo, v0, v2
	v_mul_u32_u24_e32 v11, 0x270, v16
	v_mad_u64_u32 v[8:9], null, s2, v15, 0
	v_add_co_ci_u32_e32 v3, vcc_lo, v1, v3, vcc_lo
	v_add_co_u32 v6, vcc_lo, v0, v6
	v_pack_b32_f16 v13, v29, v45
	v_add_co_ci_u32_e32 v7, vcc_lo, v1, v7, vcc_lo
	v_pack_b32_f16 v17, v52, v37
	v_sub_nc_u32_e32 v11, v14, v11
	v_add_nc_u32_e32 v14, 0x1d4, v12
	v_mov_b32_e32 v5, v10
	v_mad_u64_u32 v[9:10], null, s3, v15, v[9:10]
	global_store_dword v[2:3], v13, off
	v_mad_u32_u24 v10, 0x4e0, v16, v11
	global_store_dword v[6:7], v17, off
	v_lshrrev_b32_e32 v6, 4, v14
	v_mul_f16_sdwa v62, v64, v78 dst_sel:DWORD dst_unused:UNUSED_PAD src0_sel:WORD_1 src1_sel:DWORD
	v_mul_f16_sdwa v65, v51, v64 dst_sel:DWORD dst_unused:UNUSED_PAD src0_sel:DWORD src1_sel:WORD_1
	v_mul_f16_sdwa v66, v71, v79 dst_sel:DWORD dst_unused:UNUSED_PAD src0_sel:WORD_1 src1_sel:DWORD
	v_mul_f16_sdwa v67, v38, v71 dst_sel:DWORD dst_unused:UNUSED_PAD src0_sel:DWORD src1_sel:WORD_1
	v_lshlrev_b64 v[2:3], 2, v[4:5]
	v_mad_u64_u32 v[4:5], null, s2, v10, 0
	v_mul_hi_u32 v11, 0x1a41a41b, v6
	v_fmac_f16_e32 v62, v51, v64
	v_fma_f16 v51, v64, v78, -v65
	v_fmac_f16_e32 v66, v38, v71
	v_fma_f16 v38, v71, v79, -v67
	v_lshlrev_b64 v[6:7], 2, v[8:9]
	v_add_nc_u32_e32 v15, 0x270, v10
	v_sub_f16_e32 v41, v47, v51
	v_sub_f16_e32 v51, v30, v66
	v_sub_f16_e32 v38, v46, v38
	v_lshrrev_b32_e32 v11, 2, v11
	v_mad_u64_u32 v[8:9], null, s3, v10, v[5:6]
	v_fma_f16 v30, v30, 2.0, -v51
	v_fma_f16 v46, v46, 2.0, -v38
	v_mul_u32_u24_e32 v16, 0x270, v11
	v_add_co_u32 v2, vcc_lo, v0, v2
	v_mad_u64_u32 v[9:10], null, s2, v15, 0
	v_add_co_ci_u32_e32 v3, vcc_lo, v1, v3, vcc_lo
	v_pack_b32_f16 v13, v30, v46
	v_mov_b32_e32 v5, v8
	v_sub_nc_u32_e32 v8, v14, v16
	v_add_co_u32 v6, vcc_lo, v0, v6
	global_store_dword v[2:3], v13, off
	v_add_nc_u32_e32 v13, 0x208, v12
	v_lshlrev_b64 v[3:4], 2, v[4:5]
	v_add_co_ci_u32_e32 v7, vcc_lo, v1, v7, vcc_lo
	v_pack_b32_f16 v17, v51, v38
	v_mov_b32_e32 v2, v10
	v_mad_u32_u24 v11, 0x4e0, v11, v8
	v_lshrrev_b32_e32 v8, 4, v13
	v_add_nc_u32_e32 v12, 0x23c, v12
	global_store_dword v[6:7], v17, off
	v_mad_u64_u32 v[5:6], null, s3, v15, v[2:3]
	v_mad_u64_u32 v[6:7], null, s2, v11, 0
	v_mul_hi_u32 v8, 0x1a41a41b, v8
	v_add_co_u32 v2, vcc_lo, v0, v3
	v_add_co_ci_u32_e32 v3, vcc_lo, v1, v4, vcc_lo
	v_mov_b32_e32 v10, v5
	v_mov_b32_e32 v4, v7
	v_sub_f16_e32 v40, v31, v62
	v_lshrrev_b32_e32 v15, 2, v8
	v_lshrrev_b32_e32 v16, 4, v12
	v_lshlrev_b64 v[7:8], 2, v[9:10]
	v_mad_u64_u32 v[4:5], null, s3, v11, v[4:5]
	v_mul_u32_u24_e32 v5, 0x270, v15
	v_fma_f16 v31, v31, 2.0, -v40
	v_fma_f16 v47, v47, 2.0, -v41
	v_mul_hi_u32 v16, 0x1a41a41b, v16
	v_add_co_u32 v9, vcc_lo, v0, v7
	v_mov_b32_e32 v7, v4
	v_sub_nc_u32_e32 v4, v13, v5
	v_pack_b32_f16 v14, v31, v47
	v_add_co_ci_u32_e32 v10, vcc_lo, v1, v8, vcc_lo
	v_pack_b32_f16 v8, v40, v41
	v_mad_u32_u24 v13, 0x4e0, v15, v4
	global_store_dword v[2:3], v14, off
	global_store_dword v[9:10], v8, off
	v_add_nc_u32_e32 v10, 0x270, v11
	v_lshrrev_b32_e32 v14, 2, v16
	v_mul_f16_sdwa v22, v56, v69 dst_sel:DWORD dst_unused:UNUSED_PAD src0_sel:DWORD src1_sel:WORD_1
	v_add_nc_u32_e32 v15, 0x270, v13
	v_lshlrev_b64 v[2:3], 2, v[6:7]
	v_mad_u64_u32 v[4:5], null, s2, v10, 0
	v_mad_u64_u32 v[6:7], null, s2, v13, 0
	v_mul_u32_u24_e32 v11, 0x270, v14
	v_fma_f16 v22, v69, v75, -v22
	v_mad_u64_u32 v[8:9], null, s2, v15, 0
	v_fma_f16 v48, v48, 2.0, -v39
	v_sub_nc_u32_e32 v12, v12, v11
	v_sub_f16_e32 v21, v50, v22
	v_sub_f16_e32 v22, v33, v24
	;; [unrolled: 1-line block ×3, first 2 shown]
	v_mad_u64_u32 v[10:11], null, s3, v10, v[5:6]
	v_mad_u32_u24 v14, 0x4e0, v14, v12
	v_mad_u64_u32 v[11:12], null, s3, v13, v[7:8]
	v_mov_b32_e32 v7, v9
	v_fma_f16 v32, v32, 2.0, -v24
	v_mad_u64_u32 v[12:13], null, s2, v14, 0
	v_add_co_u32 v2, vcc_lo, v0, v2
	v_mov_b32_e32 v5, v10
	v_mad_u64_u32 v[9:10], null, s3, v15, v[7:8]
	v_add_nc_u32_e32 v15, 0x270, v14
	v_add_co_ci_u32_e32 v3, vcc_lo, v1, v3, vcc_lo
	v_pack_b32_f16 v16, v32, v48
	v_mov_b32_e32 v7, v11
	v_mad_u64_u32 v[10:11], null, s2, v15, 0
	v_mul_f16_sdwa v20, v69, v75 dst_sel:DWORD dst_unused:UNUSED_PAD src0_sel:WORD_1 src1_sel:DWORD
	global_store_dword v[2:3], v16, off
	v_lshlrev_b64 v[2:3], 2, v[4:5]
	v_mov_b32_e32 v4, v13
	v_lshlrev_b64 v[6:7], 2, v[6:7]
	v_fmac_f16_e32 v20, v56, v69
	v_lshlrev_b64 v[8:9], 2, v[8:9]
	v_fma_f16 v33, v33, 2.0, -v22
	v_mad_u64_u32 v[4:5], null, s3, v14, v[4:5]
	v_mov_b32_e32 v5, v11
	v_add_co_u32 v2, vcc_lo, v0, v2
	v_add_co_ci_u32_e32 v3, vcc_lo, v1, v3, vcc_lo
	v_mad_u64_u32 v[14:15], null, s3, v15, v[5:6]
	v_mov_b32_e32 v13, v4
	v_add_co_u32 v4, vcc_lo, v0, v6
	v_sub_f16_e32 v20, v34, v20
	v_add_co_ci_u32_e32 v5, vcc_lo, v1, v7, vcc_lo
	v_mov_b32_e32 v11, v14
	v_lshlrev_b64 v[6:7], 2, v[12:13]
	v_fma_f16 v49, v49, 2.0, -v23
	v_add_co_u32 v8, vcc_lo, v0, v8
	v_lshlrev_b64 v[10:11], 2, v[10:11]
	v_fma_f16 v34, v34, 2.0, -v20
	v_fma_f16 v50, v50, 2.0, -v21
	v_add_co_ci_u32_e32 v9, vcc_lo, v1, v9, vcc_lo
	v_add_co_u32 v6, vcc_lo, v0, v6
	v_pack_b32_f16 v16, v24, v39
	v_pack_b32_f16 v15, v33, v49
	v_add_co_ci_u32_e32 v7, vcc_lo, v1, v7, vcc_lo
	v_pack_b32_f16 v12, v22, v23
	v_add_co_u32 v0, vcc_lo, v0, v10
	v_pack_b32_f16 v13, v34, v50
	v_add_co_ci_u32_e32 v1, vcc_lo, v1, v11, vcc_lo
	v_pack_b32_f16 v10, v20, v21
	global_store_dword v[2:3], v16, off
	global_store_dword v[4:5], v15, off
	;; [unrolled: 1-line block ×5, first 2 shown]
.LBB0_23:
	s_endpgm
	.section	.rodata,"a",@progbits
	.p2align	6, 0x0
	.amdhsa_kernel fft_rtc_back_len1248_factors_2_2_13_2_3_2_2_wgs_52_tpt_52_halfLds_half_op_CI_CI_sbrr_dirReg
		.amdhsa_group_segment_fixed_size 0
		.amdhsa_private_segment_fixed_size 0
		.amdhsa_kernarg_size 104
		.amdhsa_user_sgpr_count 6
		.amdhsa_user_sgpr_private_segment_buffer 1
		.amdhsa_user_sgpr_dispatch_ptr 0
		.amdhsa_user_sgpr_queue_ptr 0
		.amdhsa_user_sgpr_kernarg_segment_ptr 1
		.amdhsa_user_sgpr_dispatch_id 0
		.amdhsa_user_sgpr_flat_scratch_init 0
		.amdhsa_user_sgpr_private_segment_size 0
		.amdhsa_wavefront_size32 1
		.amdhsa_uses_dynamic_stack 0
		.amdhsa_system_sgpr_private_segment_wavefront_offset 0
		.amdhsa_system_sgpr_workgroup_id_x 1
		.amdhsa_system_sgpr_workgroup_id_y 0
		.amdhsa_system_sgpr_workgroup_id_z 0
		.amdhsa_system_sgpr_workgroup_info 0
		.amdhsa_system_vgpr_workitem_id 0
		.amdhsa_next_free_vgpr 168
		.amdhsa_next_free_sgpr 31
		.amdhsa_reserve_vcc 1
		.amdhsa_reserve_flat_scratch 0
		.amdhsa_float_round_mode_32 0
		.amdhsa_float_round_mode_16_64 0
		.amdhsa_float_denorm_mode_32 3
		.amdhsa_float_denorm_mode_16_64 3
		.amdhsa_dx10_clamp 1
		.amdhsa_ieee_mode 1
		.amdhsa_fp16_overflow 0
		.amdhsa_workgroup_processor_mode 1
		.amdhsa_memory_ordered 1
		.amdhsa_forward_progress 0
		.amdhsa_shared_vgpr_count 0
		.amdhsa_exception_fp_ieee_invalid_op 0
		.amdhsa_exception_fp_denorm_src 0
		.amdhsa_exception_fp_ieee_div_zero 0
		.amdhsa_exception_fp_ieee_overflow 0
		.amdhsa_exception_fp_ieee_underflow 0
		.amdhsa_exception_fp_ieee_inexact 0
		.amdhsa_exception_int_div_zero 0
	.end_amdhsa_kernel
	.text
.Lfunc_end0:
	.size	fft_rtc_back_len1248_factors_2_2_13_2_3_2_2_wgs_52_tpt_52_halfLds_half_op_CI_CI_sbrr_dirReg, .Lfunc_end0-fft_rtc_back_len1248_factors_2_2_13_2_3_2_2_wgs_52_tpt_52_halfLds_half_op_CI_CI_sbrr_dirReg
                                        ; -- End function
	.section	.AMDGPU.csdata,"",@progbits
; Kernel info:
; codeLenInByte = 22380
; NumSgprs: 33
; NumVgprs: 168
; ScratchSize: 0
; MemoryBound: 0
; FloatMode: 240
; IeeeMode: 1
; LDSByteSize: 0 bytes/workgroup (compile time only)
; SGPRBlocks: 4
; VGPRBlocks: 20
; NumSGPRsForWavesPerEU: 33
; NumVGPRsForWavesPerEU: 168
; Occupancy: 5
; WaveLimiterHint : 1
; COMPUTE_PGM_RSRC2:SCRATCH_EN: 0
; COMPUTE_PGM_RSRC2:USER_SGPR: 6
; COMPUTE_PGM_RSRC2:TRAP_HANDLER: 0
; COMPUTE_PGM_RSRC2:TGID_X_EN: 1
; COMPUTE_PGM_RSRC2:TGID_Y_EN: 0
; COMPUTE_PGM_RSRC2:TGID_Z_EN: 0
; COMPUTE_PGM_RSRC2:TIDIG_COMP_CNT: 0
	.text
	.p2alignl 6, 3214868480
	.fill 48, 4, 3214868480
	.type	__hip_cuid_3164a73ee6cad7b6,@object ; @__hip_cuid_3164a73ee6cad7b6
	.section	.bss,"aw",@nobits
	.globl	__hip_cuid_3164a73ee6cad7b6
__hip_cuid_3164a73ee6cad7b6:
	.byte	0                               ; 0x0
	.size	__hip_cuid_3164a73ee6cad7b6, 1

	.ident	"AMD clang version 19.0.0git (https://github.com/RadeonOpenCompute/llvm-project roc-6.4.0 25133 c7fe45cf4b819c5991fe208aaa96edf142730f1d)"
	.section	".note.GNU-stack","",@progbits
	.addrsig
	.addrsig_sym __hip_cuid_3164a73ee6cad7b6
	.amdgpu_metadata
---
amdhsa.kernels:
  - .args:
      - .actual_access:  read_only
        .address_space:  global
        .offset:         0
        .size:           8
        .value_kind:     global_buffer
      - .offset:         8
        .size:           8
        .value_kind:     by_value
      - .actual_access:  read_only
        .address_space:  global
        .offset:         16
        .size:           8
        .value_kind:     global_buffer
      - .actual_access:  read_only
        .address_space:  global
        .offset:         24
        .size:           8
        .value_kind:     global_buffer
      - .actual_access:  read_only
        .address_space:  global
        .offset:         32
        .size:           8
        .value_kind:     global_buffer
      - .offset:         40
        .size:           8
        .value_kind:     by_value
      - .actual_access:  read_only
        .address_space:  global
        .offset:         48
        .size:           8
        .value_kind:     global_buffer
      - .actual_access:  read_only
        .address_space:  global
        .offset:         56
        .size:           8
        .value_kind:     global_buffer
      - .offset:         64
        .size:           4
        .value_kind:     by_value
      - .actual_access:  read_only
        .address_space:  global
        .offset:         72
        .size:           8
        .value_kind:     global_buffer
      - .actual_access:  read_only
        .address_space:  global
        .offset:         80
        .size:           8
        .value_kind:     global_buffer
      - .actual_access:  read_only
        .address_space:  global
        .offset:         88
        .size:           8
        .value_kind:     global_buffer
      - .actual_access:  write_only
        .address_space:  global
        .offset:         96
        .size:           8
        .value_kind:     global_buffer
    .group_segment_fixed_size: 0
    .kernarg_segment_align: 8
    .kernarg_segment_size: 104
    .language:       OpenCL C
    .language_version:
      - 2
      - 0
    .max_flat_workgroup_size: 52
    .name:           fft_rtc_back_len1248_factors_2_2_13_2_3_2_2_wgs_52_tpt_52_halfLds_half_op_CI_CI_sbrr_dirReg
    .private_segment_fixed_size: 0
    .sgpr_count:     33
    .sgpr_spill_count: 0
    .symbol:         fft_rtc_back_len1248_factors_2_2_13_2_3_2_2_wgs_52_tpt_52_halfLds_half_op_CI_CI_sbrr_dirReg.kd
    .uniform_work_group_size: 1
    .uses_dynamic_stack: false
    .vgpr_count:     168
    .vgpr_spill_count: 0
    .wavefront_size: 32
    .workgroup_processor_mode: 1
amdhsa.target:   amdgcn-amd-amdhsa--gfx1030
amdhsa.version:
  - 1
  - 2
...

	.end_amdgpu_metadata
